;; amdgpu-corpus repo=ROCm/rocFFT kind=compiled arch=gfx906 opt=O3
	.text
	.amdgcn_target "amdgcn-amd-amdhsa--gfx906"
	.amdhsa_code_object_version 6
	.protected	bluestein_single_fwd_len702_dim1_dp_op_CI_CI ; -- Begin function bluestein_single_fwd_len702_dim1_dp_op_CI_CI
	.globl	bluestein_single_fwd_len702_dim1_dp_op_CI_CI
	.p2align	8
	.type	bluestein_single_fwd_len702_dim1_dp_op_CI_CI,@function
bluestein_single_fwd_len702_dim1_dp_op_CI_CI: ; @bluestein_single_fwd_len702_dim1_dp_op_CI_CI
; %bb.0:
	s_load_dwordx4 s[0:3], s[4:5], 0x28
	v_mul_u32_u24_e32 v1, 0x231, v0
	v_add_u32_sdwa v116, s6, v1 dst_sel:DWORD dst_unused:UNUSED_PAD src0_sel:DWORD src1_sel:WORD_1
	v_mov_b32_e32 v117, 0
	s_waitcnt lgkmcnt(0)
	v_cmp_gt_u64_e32 vcc, s[0:1], v[116:117]
	s_and_saveexec_b64 s[0:1], vcc
	s_cbranch_execz .LBB0_15
; %bb.1:
	s_load_dwordx2 s[14:15], s[4:5], 0x0
	s_load_dwordx2 s[12:13], s[4:5], 0x38
	s_movk_i32 s0, 0x75
	v_mul_lo_u16_sdwa v1, v1, s0 dst_sel:DWORD dst_unused:UNUSED_PAD src0_sel:WORD_1 src1_sel:DWORD
	v_sub_u16_e32 v226, v0, v1
	v_cmp_gt_u16_e64 s[0:1], 54, v226
	v_lshlrev_b32_e32 v225, 4, v226
	s_and_saveexec_b64 s[6:7], s[0:1]
	s_cbranch_execz .LBB0_3
; %bb.2:
	s_load_dwordx2 s[8:9], s[4:5], 0x18
	s_waitcnt lgkmcnt(0)
	v_mov_b32_e32 v40, s15
	s_load_dwordx4 s[8:11], s[8:9], 0x0
	s_waitcnt lgkmcnt(0)
	v_mad_u64_u32 v[0:1], s[16:17], s10, v116, 0
	v_mad_u64_u32 v[2:3], s[16:17], s8, v226, 0
	;; [unrolled: 1-line block ×4, first 2 shown]
	v_mov_b32_e32 v1, v4
	v_lshlrev_b64 v[0:1], 4, v[0:1]
	v_mov_b32_e32 v3, v5
	v_mov_b32_e32 v6, s3
	v_lshlrev_b64 v[2:3], 4, v[2:3]
	v_add_co_u32_e32 v0, vcc, s2, v0
	v_addc_co_u32_e32 v1, vcc, v6, v1, vcc
	v_add_co_u32_e32 v16, vcc, v0, v2
	s_mul_i32 s2, s9, 0x360
	s_mul_hi_u32 s3, s8, 0x360
	v_addc_co_u32_e32 v17, vcc, v1, v3, vcc
	s_add_i32 s2, s3, s2
	s_mul_i32 s3, s8, 0x360
	v_mov_b32_e32 v0, s2
	v_add_co_u32_e32 v18, vcc, s3, v16
	v_addc_co_u32_e32 v19, vcc, v17, v0, vcc
	global_load_dwordx4 v[0:3], v[16:17], off
	global_load_dwordx4 v[4:7], v[18:19], off
	global_load_dwordx4 v[8:11], v225, s[14:15]
	global_load_dwordx4 v[12:15], v225, s[14:15] offset:864
	v_mov_b32_e32 v16, s2
	v_add_co_u32_e32 v32, vcc, s3, v18
	v_addc_co_u32_e32 v33, vcc, v19, v16, vcc
	v_add_co_u32_e32 v34, vcc, s3, v32
	v_addc_co_u32_e32 v35, vcc, v33, v16, vcc
	global_load_dwordx4 v[16:19], v[32:33], off
	global_load_dwordx4 v[20:23], v[34:35], off
	global_load_dwordx4 v[24:27], v225, s[14:15] offset:1728
	global_load_dwordx4 v[28:31], v225, s[14:15] offset:2592
	v_mov_b32_e32 v32, s2
	v_add_co_u32_e32 v56, vcc, s3, v34
	v_addc_co_u32_e32 v57, vcc, v35, v32, vcc
	v_add_co_u32_e32 v86, vcc, s14, v225
	s_movk_i32 s8, 0x1000
	v_addc_co_u32_e32 v87, vcc, 0, v40, vcc
	v_add_co_u32_e32 v80, vcc, s8, v86
	global_load_dwordx4 v[32:35], v225, s[14:15] offset:3456
	global_load_dwordx4 v[36:39], v[56:57], off
	v_addc_co_u32_e32 v81, vcc, 0, v87, vcc
	v_mov_b32_e32 v58, s2
	v_add_co_u32_e32 v60, vcc, s3, v56
	v_addc_co_u32_e32 v61, vcc, v57, v58, vcc
	v_mov_b32_e32 v62, s2
	v_add_co_u32_e32 v64, vcc, s3, v60
	;; [unrolled: 3-line block ×4, first 2 shown]
	v_addc_co_u32_e32 v73, vcc, v69, v70, vcc
	global_load_dwordx4 v[40:43], v[80:81], off offset:224
	global_load_dwordx4 v[44:47], v[80:81], off offset:1088
	;; [unrolled: 1-line block ×4, first 2 shown]
	v_mov_b32_e32 v74, s2
	global_load_dwordx4 v[56:59], v[60:61], off
	v_add_co_u32_e32 v82, vcc, s3, v72
	v_addc_co_u32_e32 v83, vcc, v73, v74, vcc
	global_load_dwordx4 v[60:63], v[64:65], off
	v_add_co_u32_e32 v84, vcc, s3, v82
	global_load_dwordx4 v[64:67], v[68:69], off
	s_movk_i32 s8, 0x2000
	global_load_dwordx4 v[68:71], v[72:73], off
	s_nop 0
	global_load_dwordx4 v[72:75], v[82:83], off
	global_load_dwordx4 v[76:79], v[80:81], off offset:3680
	v_mov_b32_e32 v80, s2
	v_addc_co_u32_e32 v85, vcc, v83, v80, vcc
	v_add_co_u32_e32 v104, vcc, s8, v86
	v_addc_co_u32_e32 v105, vcc, 0, v87, vcc
	v_mov_b32_e32 v86, s2
	v_add_co_u32_e32 v96, vcc, s3, v84
	v_addc_co_u32_e32 v97, vcc, v85, v86, vcc
	global_load_dwordx4 v[80:83], v[84:85], off
	v_mov_b32_e32 v98, s2
	v_add_co_u32_e32 v106, vcc, s3, v96
	global_load_dwordx4 v[84:87], v[96:97], off
	global_load_dwordx4 v[88:91], v[104:105], off offset:448
	global_load_dwordx4 v[92:95], v[104:105], off offset:1312
	v_addc_co_u32_e32 v107, vcc, v97, v98, vcc
	global_load_dwordx4 v[96:99], v[106:107], off
	global_load_dwordx4 v[100:103], v[104:105], off offset:2176
	s_waitcnt vmcnt(23)
	v_mul_f64 v[104:105], v[2:3], v[10:11]
	v_mul_f64 v[10:11], v[0:1], v[10:11]
	s_waitcnt vmcnt(22)
	v_mul_f64 v[106:107], v[6:7], v[14:15]
	v_mul_f64 v[14:15], v[4:5], v[14:15]
	v_fma_f64 v[0:1], v[0:1], v[8:9], v[104:105]
	v_fma_f64 v[2:3], v[2:3], v[8:9], -v[10:11]
	s_waitcnt vmcnt(19)
	v_mul_f64 v[8:9], v[18:19], v[26:27]
	v_mul_f64 v[10:11], v[16:17], v[26:27]
	s_waitcnt vmcnt(18)
	v_mul_f64 v[26:27], v[22:23], v[30:31]
	v_mul_f64 v[30:31], v[20:21], v[30:31]
	v_fma_f64 v[4:5], v[4:5], v[12:13], v[106:107]
	v_fma_f64 v[6:7], v[6:7], v[12:13], -v[14:15]
	v_fma_f64 v[8:9], v[16:17], v[24:25], v[8:9]
	v_fma_f64 v[10:11], v[18:19], v[24:25], -v[10:11]
	;; [unrolled: 2-line block ×3, first 2 shown]
	ds_write_b128 v225, v[0:3]
	ds_write_b128 v225, v[4:7] offset:864
	ds_write_b128 v225, v[8:11] offset:1728
	s_waitcnt vmcnt(16)
	v_mul_f64 v[104:105], v[38:39], v[34:35]
	v_mul_f64 v[34:35], v[36:37], v[34:35]
	ds_write_b128 v225, v[12:15] offset:2592
	v_fma_f64 v[16:17], v[36:37], v[32:33], v[104:105]
	v_fma_f64 v[18:19], v[38:39], v[32:33], -v[34:35]
	ds_write_b128 v225, v[16:19] offset:3456
	s_waitcnt vmcnt(11)
	v_mul_f64 v[20:21], v[58:59], v[42:43]
	v_mul_f64 v[2:3], v[56:57], v[42:43]
	s_waitcnt vmcnt(10)
	v_mul_f64 v[4:5], v[62:63], v[46:47]
	v_mul_f64 v[6:7], v[60:61], v[46:47]
	;; [unrolled: 3-line block ×5, first 2 shown]
	v_fma_f64 v[0:1], v[56:57], v[40:41], v[20:21]
	v_fma_f64 v[2:3], v[58:59], v[40:41], -v[2:3]
	v_fma_f64 v[4:5], v[60:61], v[44:45], v[4:5]
	v_fma_f64 v[6:7], v[62:63], v[44:45], -v[6:7]
	v_fma_f64 v[8:9], v[64:65], v[48:49], v[8:9]
	v_fma_f64 v[10:11], v[66:67], v[48:49], -v[10:11]
	v_fma_f64 v[12:13], v[68:69], v[52:53], v[12:13]
	v_fma_f64 v[14:15], v[70:71], v[52:53], -v[14:15]
	v_fma_f64 v[16:17], v[72:73], v[76:77], v[16:17]
	v_fma_f64 v[18:19], v[74:75], v[76:77], -v[18:19]
	s_waitcnt vmcnt(3)
	v_mul_f64 v[20:21], v[82:83], v[90:91]
	v_mul_f64 v[22:23], v[80:81], v[90:91]
	s_waitcnt vmcnt(2)
	v_mul_f64 v[24:25], v[86:87], v[94:95]
	v_mul_f64 v[26:27], v[84:85], v[94:95]
	;; [unrolled: 3-line block ×3, first 2 shown]
	v_fma_f64 v[20:21], v[80:81], v[88:89], v[20:21]
	v_fma_f64 v[22:23], v[82:83], v[88:89], -v[22:23]
	v_fma_f64 v[24:25], v[84:85], v[92:93], v[24:25]
	v_fma_f64 v[26:27], v[86:87], v[92:93], -v[26:27]
	;; [unrolled: 2-line block ×3, first 2 shown]
	ds_write_b128 v225, v[0:3] offset:4320
	ds_write_b128 v225, v[4:7] offset:5184
	;; [unrolled: 1-line block ×8, first 2 shown]
.LBB0_3:
	s_or_b64 exec, exec, s[6:7]
	s_load_dwordx2 s[6:7], s[4:5], 0x20
	s_load_dwordx2 s[2:3], s[4:5], 0x8
	s_waitcnt lgkmcnt(0)
	s_barrier
	s_waitcnt lgkmcnt(0)
                                        ; implicit-def: $vgpr28_vgpr29
                                        ; implicit-def: $vgpr32_vgpr33
                                        ; implicit-def: $vgpr36_vgpr37
                                        ; implicit-def: $vgpr40_vgpr41
                                        ; implicit-def: $vgpr44_vgpr45
                                        ; implicit-def: $vgpr48_vgpr49
                                        ; implicit-def: $vgpr52_vgpr53
                                        ; implicit-def: $vgpr56_vgpr57
                                        ; implicit-def: $vgpr60_vgpr61
                                        ; implicit-def: $vgpr64_vgpr65
                                        ; implicit-def: $vgpr68_vgpr69
                                        ; implicit-def: $vgpr72_vgpr73
                                        ; implicit-def: $vgpr76_vgpr77
	s_and_saveexec_b64 s[4:5], s[0:1]
	s_cbranch_execz .LBB0_5
; %bb.4:
	ds_read_b128 v[28:31], v225
	ds_read_b128 v[32:35], v225 offset:864
	ds_read_b128 v[36:39], v225 offset:1728
	ds_read_b128 v[40:43], v225 offset:2592
	ds_read_b128 v[44:47], v225 offset:3456
	ds_read_b128 v[48:51], v225 offset:4320
	ds_read_b128 v[52:55], v225 offset:5184
	ds_read_b128 v[56:59], v225 offset:6048
	ds_read_b128 v[60:63], v225 offset:6912
	ds_read_b128 v[64:67], v225 offset:7776
	ds_read_b128 v[68:71], v225 offset:8640
	ds_read_b128 v[72:75], v225 offset:9504
	ds_read_b128 v[76:79], v225 offset:10368
.LBB0_5:
	s_or_b64 exec, exec, s[4:5]
	s_waitcnt lgkmcnt(0)
	v_add_f64 v[12:13], v[34:35], -v[78:79]
	s_mov_b32 s19, 0xbfddbe06
	s_mov_b32 s18, 0x4267c47c
	v_add_f64 v[94:95], v[32:33], v[76:77]
	v_add_f64 v[14:15], v[38:39], -v[74:75]
	v_add_f64 v[16:17], v[32:33], -v[76:77]
	s_mov_b32 s4, 0xe00740e9
	s_mov_b32 s24, 0x42a4c3d2
	v_mul_f64 v[80:81], v[12:13], s[18:19]
	s_mov_b32 s5, 0x3fec55a7
	s_mov_b32 s25, 0xbfea55e2
	v_add_f64 v[102:103], v[36:37], v[72:73]
	v_add_f64 v[112:113], v[34:35], v[78:79]
	v_add_f64 v[18:19], v[36:37], -v[72:73]
	v_mul_f64 v[82:83], v[14:15], s[24:25]
	v_mul_f64 v[84:85], v[16:17], s[18:19]
	v_fma_f64 v[0:1], v[94:95], s[4:5], v[80:81]
	v_add_f64 v[20:21], v[42:43], -v[70:71]
	s_mov_b32 s8, 0x1ea71119
	s_mov_b32 s28, 0x66966769
	;; [unrolled: 1-line block ×4, first 2 shown]
	v_add_f64 v[104:105], v[38:39], v[74:75]
	v_mul_f64 v[88:89], v[18:19], s[24:25]
	v_fma_f64 v[2:3], v[102:103], s[8:9], v[82:83]
	v_fma_f64 v[4:5], v[112:113], s[4:5], -v[84:85]
	v_add_f64 v[0:1], v[28:29], v[0:1]
	v_add_f64 v[117:118], v[40:41], v[68:69]
	v_mul_f64 v[86:87], v[20:21], s[28:29]
	v_add_f64 v[22:23], v[40:41], -v[68:69]
	s_mov_b32 s10, 0xebaa3ed8
	s_mov_b32 s11, 0x3fbedb7d
	v_fma_f64 v[6:7], v[104:105], s[8:9], -v[88:89]
	v_add_f64 v[4:5], v[30:31], v[4:5]
	v_add_f64 v[0:1], v[2:3], v[0:1]
	v_add_f64 v[24:25], v[46:47], -v[66:67]
	v_fma_f64 v[2:3], v[117:118], s[10:11], v[86:87]
	v_add_f64 v[133:134], v[42:43], v[70:71]
	v_mul_f64 v[92:93], v[22:23], s[28:29]
	v_add_f64 v[26:27], v[44:45], -v[64:65]
	v_mul_f64 v[110:111], v[12:13], s[24:25]
	v_mul_f64 v[147:148], v[16:17], s[24:25]
	s_mov_b32 s26, 0x2ef20147
	s_mov_b32 s27, 0xbfedeba7
	v_add_f64 v[123:124], v[44:45], v[64:65]
	v_mul_f64 v[90:91], v[24:25], s[26:27]
	v_add_f64 v[4:5], v[6:7], v[4:5]
	v_add_f64 v[0:1], v[2:3], v[0:1]
	v_fma_f64 v[2:3], v[133:134], s[10:11], -v[92:93]
	v_add_f64 v[227:228], v[50:51], -v[62:63]
	v_add_f64 v[141:142], v[46:47], v[66:67]
	v_mul_f64 v[96:97], v[26:27], s[26:27]
	v_add_f64 v[229:230], v[48:49], -v[60:61]
	v_fma_f64 v[8:9], v[94:95], s[8:9], v[110:111]
	v_mul_f64 v[114:115], v[14:15], s[26:27]
	v_fma_f64 v[10:11], v[112:113], s[8:9], -v[147:148]
	v_mul_f64 v[127:128], v[18:19], s[26:27]
	s_mov_b32 s16, 0xb2365da1
	s_mov_b32 s30, 0x24c2f84
	;; [unrolled: 1-line block ×6, first 2 shown]
	v_fma_f64 v[6:7], v[123:124], s[16:17], v[90:91]
	v_add_f64 v[139:140], v[48:49], v[60:61]
	v_mul_f64 v[98:99], v[227:228], s[30:31]
	v_add_f64 v[2:3], v[2:3], v[4:5]
	v_fma_f64 v[4:5], v[141:142], s[16:17], -v[96:97]
	v_add_f64 v[145:146], v[50:51], v[62:63]
	v_mul_f64 v[100:101], v[229:230], s[30:31]
	v_add_f64 v[231:232], v[54:55], -v[58:59]
	v_add_f64 v[233:234], v[52:53], -v[56:57]
	v_add_f64 v[8:9], v[28:29], v[8:9]
	v_fma_f64 v[121:122], v[102:103], s[16:17], v[114:115]
	v_add_f64 v[10:11], v[30:31], v[10:11]
	v_fma_f64 v[125:126], v[104:105], s[16:17], -v[127:128]
	v_mul_f64 v[119:120], v[20:21], s[36:37]
	v_mul_f64 v[129:130], v[22:23], s[36:37]
	s_mov_b32 s20, 0xd0032e0c
	s_mov_b32 s22, 0x93053d00
	;; [unrolled: 1-line block ×6, first 2 shown]
	v_add_f64 v[0:1], v[6:7], v[0:1]
	v_fma_f64 v[6:7], v[139:140], s[20:21], v[98:99]
	v_add_f64 v[2:3], v[4:5], v[2:3]
	v_fma_f64 v[4:5], v[145:146], s[20:21], -v[100:101]
	v_add_f64 v[169:170], v[52:53], v[56:57]
	v_mul_f64 v[106:107], v[231:232], s[36:37]
	v_add_f64 v[171:172], v[54:55], v[58:59]
	v_mul_f64 v[108:109], v[233:234], s[36:37]
	v_add_f64 v[8:9], v[121:122], v[8:9]
	v_add_f64 v[10:11], v[125:126], v[10:11]
	v_fma_f64 v[125:126], v[117:118], s[22:23], v[119:120]
	v_fma_f64 v[135:136], v[133:134], s[22:23], -v[129:130]
	v_mul_f64 v[121:122], v[24:25], s[38:39]
	v_mul_f64 v[131:132], v[26:27], s[38:39]
	s_mov_b32 s35, 0x3fefc445
	s_mov_b32 s34, s28
	v_add_f64 v[0:1], v[6:7], v[0:1]
	v_add_f64 v[2:3], v[4:5], v[2:3]
	v_fma_f64 v[4:5], v[169:170], s[22:23], v[106:107]
	v_fma_f64 v[6:7], v[171:172], s[22:23], -v[108:109]
	v_add_f64 v[8:9], v[125:126], v[8:9]
	v_add_f64 v[10:11], v[135:136], v[10:11]
	v_fma_f64 v[135:136], v[123:124], s[20:21], v[121:122]
	v_mul_f64 v[143:144], v[12:13], s[28:29]
	v_fma_f64 v[137:138], v[141:142], s[20:21], -v[131:132]
	v_mul_f64 v[125:126], v[227:228], s[34:35]
	v_mul_f64 v[173:174], v[16:17], s[28:29]
	v_add_f64 v[0:1], v[4:5], v[0:1]
	v_add_f64 v[2:3], v[6:7], v[2:3]
	v_mul_f64 v[149:150], v[14:15], s[36:37]
	v_add_f64 v[6:7], v[135:136], v[8:9]
	v_fma_f64 v[4:5], v[94:95], s[10:11], v[143:144]
	v_add_f64 v[8:9], v[137:138], v[10:11]
	v_fma_f64 v[10:11], v[139:140], s[10:11], v[125:126]
	v_fma_f64 v[135:136], v[112:113], s[10:11], -v[173:174]
	v_mul_f64 v[175:176], v[18:19], s[36:37]
	s_mov_b32 s41, 0x3fedeba7
	s_mov_b32 s40, s26
	v_mul_f64 v[137:138], v[229:230], s[34:35]
	v_add_f64 v[4:5], v[28:29], v[4:5]
	v_fma_f64 v[153:154], v[102:103], s[22:23], v[149:150]
	v_mul_f64 v[151:152], v[20:21], s[40:41]
	v_add_f64 v[6:7], v[10:11], v[6:7]
	v_add_f64 v[10:11], v[30:31], v[135:136]
	v_fma_f64 v[159:160], v[104:105], s[22:23], -v[175:176]
	v_mul_f64 v[157:158], v[22:23], s[40:41]
	s_mov_b32 s19, 0x3fddbe06
	v_fma_f64 v[163:164], v[145:146], s[10:11], -v[137:138]
	v_add_f64 v[4:5], v[153:154], v[4:5]
	v_fma_f64 v[165:166], v[117:118], s[16:17], v[151:152]
	v_mul_f64 v[155:156], v[24:25], s[18:19]
	v_mul_f64 v[161:162], v[26:27], s[18:19]
	v_add_f64 v[10:11], v[159:160], v[10:11]
	v_fma_f64 v[159:160], v[133:134], s[16:17], -v[157:158]
	v_mul_f64 v[177:178], v[12:13], s[26:27]
	v_mul_f64 v[135:136], v[231:232], s[18:19]
	v_add_f64 v[8:9], v[163:164], v[8:9]
	v_add_f64 v[4:5], v[165:166], v[4:5]
	v_fma_f64 v[163:164], v[123:124], s[4:5], v[155:156]
	v_fma_f64 v[167:168], v[141:142], s[4:5], -v[161:162]
	v_mul_f64 v[165:166], v[229:230], s[24:25]
	v_add_f64 v[10:11], v[159:160], v[10:11]
	v_mul_f64 v[159:160], v[227:228], s[24:25]
	v_fma_f64 v[181:182], v[94:95], s[16:17], v[177:178]
	v_mul_f64 v[179:180], v[14:15], s[38:39]
	v_mul_f64 v[187:188], v[16:17], s[26:27]
	;; [unrolled: 1-line block ×3, first 2 shown]
	v_fma_f64 v[183:184], v[169:170], s[4:5], v[135:136]
	v_add_f64 v[4:5], v[163:164], v[4:5]
	v_add_f64 v[10:11], v[167:168], v[10:11]
	v_fma_f64 v[191:192], v[139:140], s[8:9], v[159:160]
	v_fma_f64 v[193:194], v[145:146], s[8:9], -v[165:166]
	v_mul_f64 v[163:164], v[231:232], s[30:31]
	v_mul_f64 v[167:168], v[233:234], s[30:31]
	v_add_f64 v[195:196], v[28:29], v[181:182]
	v_fma_f64 v[197:198], v[102:103], s[20:21], v[179:180]
	v_fma_f64 v[199:200], v[112:113], s[16:17], -v[187:188]
	v_mul_f64 v[189:190], v[18:19], s[38:39]
	v_mul_f64 v[181:182], v[20:21], s[18:19]
	v_fma_f64 v[185:186], v[171:172], s[4:5], -v[153:154]
	v_add_f64 v[201:202], v[191:192], v[4:5]
	v_add_f64 v[10:11], v[193:194], v[10:11]
	v_fma_f64 v[193:194], v[169:170], s[20:21], v[163:164]
	v_fma_f64 v[203:204], v[171:172], s[20:21], -v[167:168]
	v_add_f64 v[195:196], v[197:198], v[195:196]
	v_add_f64 v[197:198], v[30:31], v[199:200]
	v_fma_f64 v[199:200], v[104:105], s[20:21], -v[189:190]
	v_fma_f64 v[205:206], v[117:118], s[4:5], v[181:182]
	v_add_f64 v[4:5], v[183:184], v[6:7]
	v_mul_f64 v[183:184], v[24:25], s[28:29]
	v_add_f64 v[6:7], v[185:186], v[8:9]
	v_add_f64 v[8:9], v[193:194], v[201:202]
	;; [unrolled: 1-line block ×3, first 2 shown]
	v_mul_f64 v[203:204], v[12:13], s[30:31]
	v_add_f64 v[193:194], v[199:200], v[197:198]
	v_add_f64 v[197:198], v[205:206], v[195:196]
	v_mul_f64 v[211:212], v[16:17], s[30:31]
	v_fma_f64 v[201:202], v[123:124], s[10:11], v[183:184]
	v_mul_f64 v[195:196], v[26:27], s[28:29]
	s_mov_b32 s29, 0x3fcea1e5
	s_mov_b32 s28, s36
	v_mul_f64 v[185:186], v[227:228], s[28:29]
	v_fma_f64 v[207:208], v[94:95], s[20:21], v[203:204]
	v_mul_f64 v[205:206], v[14:15], s[34:35]
	v_mul_f64 v[213:214], v[18:19], s[34:35]
	v_add_f64 v[197:198], v[201:202], v[197:198]
	v_fma_f64 v[201:202], v[112:113], s[20:21], -v[211:212]
	v_mul_f64 v[217:218], v[22:23], s[24:25]
	v_mul_f64 v[191:192], v[22:23], s[18:19]
	v_fma_f64 v[215:216], v[139:140], s[22:23], v[185:186]
	v_add_f64 v[219:220], v[28:29], v[207:208]
	v_fma_f64 v[221:222], v[102:103], s[10:11], v[205:206]
	v_fma_f64 v[235:236], v[104:105], s[10:11], -v[213:214]
	v_mul_f64 v[12:13], v[12:13], s[36:37]
	v_add_f64 v[223:224], v[30:31], v[201:202]
	v_mul_f64 v[16:17], v[16:17], s[36:37]
	v_fma_f64 v[199:200], v[133:134], s[4:5], -v[191:192]
	v_add_f64 v[237:238], v[215:216], v[197:198]
	v_fma_f64 v[209:210], v[141:142], s[10:11], -v[195:196]
	v_add_f64 v[197:198], v[221:222], v[219:220]
	v_mul_f64 v[221:222], v[26:27], s[28:29]
	v_mul_f64 v[207:208], v[20:21], s[24:25]
	v_add_f64 v[219:220], v[235:236], v[223:224]
	v_fma_f64 v[223:224], v[133:134], s[8:9], -v[217:218]
	v_add_f64 v[199:200], v[199:200], v[193:194]
	v_mul_f64 v[193:194], v[229:230], s[28:29]
	v_fma_f64 v[243:244], v[94:95], s[22:23], -v[12:13]
	v_mul_f64 v[14:15], v[14:15], s[18:19]
	v_fma_f64 v[241:242], v[141:142], s[22:23], -v[221:222]
	v_fma_f64 v[249:250], v[112:113], s[22:23], v[16:17]
	v_mul_f64 v[18:19], v[18:19], s[18:19]
	v_add_f64 v[223:224], v[223:224], v[219:220]
	v_mul_f64 v[219:220], v[229:230], s[18:19]
	v_fma_f64 v[12:13], v[94:95], s[22:23], v[12:13]
	v_fma_f64 v[16:17], v[112:113], s[22:23], -v[16:17]
	v_add_f64 v[199:200], v[209:210], v[199:200]
	v_fma_f64 v[209:210], v[145:146], s[22:23], -v[193:194]
	v_fma_f64 v[215:216], v[117:118], s[8:9], v[207:208]
	v_mul_f64 v[201:202], v[24:25], s[28:29]
	v_add_f64 v[223:224], v[241:242], v[223:224]
	v_fma_f64 v[241:242], v[145:146], s[4:5], -v[219:220]
	v_add_f64 v[249:250], v[30:31], v[249:250]
	v_fma_f64 v[251:252], v[104:105], s[4:5], v[18:19]
	v_mul_f64 v[20:21], v[20:21], s[30:31]
	v_mul_f64 v[22:23], v[22:23], s[30:31]
	v_add_f64 v[12:13], v[28:29], v[12:13]
	v_add_f64 v[16:17], v[30:31], v[16:17]
	v_fma_f64 v[18:19], v[104:105], s[4:5], -v[18:19]
	v_add_f64 v[241:242], v[241:242], v[223:224]
	v_add_f64 v[223:224], v[28:29], v[243:244]
	v_fma_f64 v[243:244], v[102:103], s[4:5], -v[14:15]
	v_fma_f64 v[14:15], v[102:103], s[4:5], v[14:15]
	s_mov_b32 s25, 0x3fea55e2
	v_add_f64 v[235:236], v[209:210], v[199:200]
	v_add_f64 v[209:210], v[215:216], v[197:198]
	v_fma_f64 v[239:240], v[123:124], s[22:23], v[201:202]
	v_mul_f64 v[215:216], v[227:228], s[18:19]
	v_add_f64 v[249:250], v[251:252], v[249:250]
	v_add_f64 v[243:244], v[243:244], v[223:224]
	v_fma_f64 v[251:252], v[117:118], s[20:21], -v[20:21]
	v_fma_f64 v[253:254], v[133:134], s[20:21], v[22:23]
	v_mul_f64 v[24:25], v[24:25], s[24:25]
	v_mul_f64 v[26:27], v[26:27], s[24:25]
	v_add_f64 v[12:13], v[14:15], v[12:13]
	v_add_f64 v[14:15], v[18:19], v[16:17]
	v_fma_f64 v[16:17], v[117:118], s[20:21], v[20:21]
	v_fma_f64 v[18:19], v[133:134], s[20:21], -v[22:23]
	v_add_f64 v[209:210], v[239:240], v[209:210]
	v_fma_f64 v[239:240], v[139:140], s[4:5], v[215:216]
	v_add_f64 v[20:21], v[251:252], v[243:244]
	v_add_f64 v[22:23], v[253:254], v[249:250]
	v_fma_f64 v[243:244], v[123:124], s[8:9], -v[24:25]
	v_fma_f64 v[249:250], v[141:142], s[8:9], v[26:27]
	v_mul_f64 v[227:228], v[227:228], s[26:27]
	v_mul_f64 v[229:230], v[229:230], s[26:27]
	v_add_f64 v[12:13], v[16:17], v[12:13]
	v_add_f64 v[14:15], v[18:19], v[14:15]
	v_fma_f64 v[16:17], v[123:124], s[8:9], v[24:25]
	v_fma_f64 v[18:19], v[141:142], s[8:9], -v[26:27]
	v_mul_f64 v[197:198], v[231:232], s[24:25]
	v_mul_f64 v[199:200], v[233:234], s[24:25]
	v_add_f64 v[239:240], v[239:240], v[209:210]
	v_mul_f64 v[209:210], v[231:232], s[26:27]
	v_mul_f64 v[223:224], v[233:234], s[26:27]
	v_add_f64 v[20:21], v[243:244], v[20:21]
	v_add_f64 v[22:23], v[249:250], v[22:23]
	v_fma_f64 v[24:25], v[139:140], s[16:17], -v[227:228]
	v_fma_f64 v[26:27], v[145:146], s[16:17], v[229:230]
	v_mul_f64 v[231:232], v[231:232], s[34:35]
	v_mul_f64 v[233:234], v[233:234], s[34:35]
	v_add_f64 v[12:13], v[16:17], v[12:13]
	v_add_f64 v[14:15], v[18:19], v[14:15]
	v_fma_f64 v[16:17], v[139:140], s[16:17], v[227:228]
	v_fma_f64 v[18:19], v[145:146], s[16:17], -v[229:230]
	v_fma_f64 v[245:246], v[169:170], s[8:9], v[197:198]
	v_fma_f64 v[247:248], v[171:172], s[8:9], -v[199:200]
	v_fma_f64 v[227:228], v[169:170], s[16:17], v[209:210]
	v_fma_f64 v[229:230], v[171:172], s[16:17], -v[223:224]
	v_add_f64 v[24:25], v[24:25], v[20:21]
	v_add_f64 v[26:27], v[26:27], v[22:23]
	v_fma_f64 v[243:244], v[169:170], s[10:11], -v[231:232]
	v_fma_f64 v[249:250], v[171:172], s[10:11], v[233:234]
	v_add_f64 v[251:252], v[16:17], v[12:13]
	v_add_f64 v[253:254], v[18:19], v[14:15]
	v_fma_f64 v[231:232], v[169:170], s[10:11], v[231:232]
	v_fma_f64 v[233:234], v[171:172], s[10:11], -v[233:234]
	v_add_f64 v[20:21], v[245:246], v[237:238]
	v_add_f64 v[22:23], v[247:248], v[235:236]
	;; [unrolled: 1-line block ×8, first 2 shown]
	v_mul_lo_u16_e32 v227, 13, v226
	s_barrier
	s_and_saveexec_b64 s[18:19], s[0:1]
	s_cbranch_execz .LBB0_7
; %bb.6:
	v_mul_f64 v[228:229], v[112:113], s[20:21]
	v_mul_f64 v[238:239], v[104:105], s[10:11]
	;; [unrolled: 1-line block ×8, first 2 shown]
	v_add_f64 v[211:212], v[211:212], v[228:229]
	v_add_f64 v[213:214], v[213:214], v[238:239]
	v_mul_f64 v[228:229], v[94:95], s[10:11]
	v_mul_f64 v[94:95], v[94:95], s[20:21]
	v_add_f64 v[217:218], v[217:218], v[244:245]
	v_mul_f64 v[240:241], v[112:113], s[10:11]
	v_mul_f64 v[112:113], v[112:113], s[16:17]
	;; [unrolled: 1-line block ×3, first 2 shown]
	v_add_f64 v[211:212], v[30:31], v[211:212]
	v_mul_f64 v[246:247], v[171:172], s[16:17]
	v_mul_f64 v[250:251], v[141:142], s[22:23]
	;; [unrolled: 1-line block ×3, first 2 shown]
	v_add_f64 v[94:95], v[94:95], -v[203:204]
	v_mul_f64 v[248:249], v[104:105], s[8:9]
	v_mul_f64 v[244:245], v[104:105], s[16:17]
	;; [unrolled: 1-line block ×3, first 2 shown]
	v_add_f64 v[211:212], v[213:214], v[211:212]
	v_mul_f64 v[213:214], v[102:103], s[22:23]
	v_add_f64 v[223:224], v[223:224], v[246:247]
	v_mul_f64 v[246:247], v[145:146], s[4:5]
	;; [unrolled: 2-line block ×3, first 2 shown]
	v_mul_f64 v[104:105], v[104:105], s[20:21]
	v_add_f64 v[94:95], v[28:29], v[94:95]
	v_add_f64 v[211:212], v[217:218], v[211:212]
	v_mul_f64 v[217:218], v[102:103], s[20:21]
	v_mul_f64 v[102:103], v[102:103], s[10:11]
	v_add_f64 v[112:113], v[187:188], v[112:113]
	v_add_f64 v[219:220], v[219:220], v[246:247]
	v_mul_f64 v[246:247], v[117:118], s[8:9]
	v_add_f64 v[215:216], v[250:251], -v[215:216]
	v_mul_f64 v[250:251], v[117:118], s[10:11]
	v_add_f64 v[211:212], v[221:222], v[211:212]
	v_mul_f64 v[187:188], v[117:118], s[16:17]
	v_add_f64 v[102:103], v[102:103], -v[205:206]
	v_mul_f64 v[205:206], v[117:118], s[22:23]
	v_add_f64 v[104:105], v[189:190], v[104:105]
	v_add_f64 v[112:113], v[30:31], v[112:113]
	v_mul_f64 v[221:222], v[133:134], s[10:11]
	v_add_f64 v[207:208], v[246:247], -v[207:208]
	v_mul_f64 v[246:247], v[133:134], s[22:23]
	v_add_f64 v[211:212], v[219:220], v[211:212]
	v_add_f64 v[94:95], v[102:103], v[94:95]
	v_mul_f64 v[102:103], v[117:118], s[4:5]
	v_mul_f64 v[117:118], v[133:134], s[4:5]
	;; [unrolled: 1-line block ×5, first 2 shown]
	v_add_f64 v[104:105], v[104:105], v[112:113]
	v_add_f64 v[177:178], v[242:243], -v[177:178]
	v_add_f64 v[94:95], v[207:208], v[94:95]
	v_add_f64 v[179:180], v[217:218], -v[179:180]
	;; [unrolled: 2-line block ×3, first 2 shown]
	v_mul_f64 v[201:202], v[123:124], s[16:17]
	v_add_f64 v[133:134], v[195:196], v[133:134]
	v_mul_f64 v[195:196], v[145:146], s[22:23]
	v_add_f64 v[177:178], v[28:29], v[177:178]
	v_mul_f64 v[191:192], v[123:124], s[20:21]
	v_mul_f64 v[219:220], v[123:124], s[4:5]
	v_add_f64 v[104:105], v[117:118], v[104:105]
	v_mul_f64 v[123:124], v[123:124], s[10:11]
	v_add_f64 v[189:190], v[189:190], v[94:95]
	v_add_f64 v[102:103], v[102:103], -v[181:182]
	v_add_f64 v[94:95], v[193:194], v[195:196]
	v_mul_f64 v[195:196], v[171:172], s[8:9]
	v_add_f64 v[177:178], v[179:180], v[177:178]
	v_mul_f64 v[117:118], v[139:140], s[20:21]
	;; [unrolled: 2-line block ×3, first 2 shown]
	v_mul_f64 v[181:182], v[139:140], s[8:9]
	v_mul_f64 v[139:140], v[139:140], s[22:23]
	v_add_f64 v[123:124], v[123:124], -v[183:184]
	v_add_f64 v[195:196], v[199:200], v[195:196]
	v_add_f64 v[102:103], v[102:103], v[177:178]
	;; [unrolled: 1-line block ×6, first 2 shown]
	v_add_f64 v[139:140], v[139:140], -v[185:186]
	v_add_f64 v[147:148], v[147:148], v[236:237]
	v_mul_f64 v[207:208], v[141:142], s[16:17]
	v_add_f64 v[123:124], v[123:124], v[102:103]
	v_add_f64 v[173:174], v[30:31], v[173:174]
	v_add_f64 v[102:103], v[195:196], v[104:105]
	v_add_f64 v[104:105], v[175:176], v[203:204]
	v_add_f64 v[34:35], v[34:35], v[38:39]
	v_add_f64 v[32:33], v[32:33], v[36:37]
	v_mul_f64 v[112:113], v[141:142], s[20:21]
	v_mul_f64 v[141:142], v[141:142], s[4:5]
	v_add_f64 v[123:124], v[139:140], v[123:124]
	v_add_f64 v[139:140], v[157:158], v[254:255]
	v_add_f64 v[143:144], v[228:229], -v[143:144]
	v_add_f64 v[104:105], v[104:105], v[173:174]
	v_add_f64 v[127:128], v[127:128], v[244:245]
	;; [unrolled: 1-line block ×5, first 2 shown]
	v_mul_f64 v[242:243], v[145:146], s[20:21]
	v_mul_f64 v[133:134], v[145:146], s[10:11]
	v_mul_f64 v[145:146], v[145:146], s[8:9]
	v_add_f64 v[36:37], v[161:162], v[141:142]
	v_add_f64 v[38:39], v[213:214], -v[149:150]
	v_add_f64 v[141:142], v[28:29], v[143:144]
	v_add_f64 v[104:105], v[139:140], v[104:105]
	v_add_f64 v[129:130], v[129:130], v[246:247]
	v_add_f64 v[127:128], v[127:128], v[147:148]
	v_add_f64 v[34:35], v[34:35], v[46:47]
	v_add_f64 v[32:33], v[32:33], v[44:45]
	v_add_f64 v[40:41], v[165:166], v[145:146]
	v_add_f64 v[42:43], v[187:188], -v[151:152]
	v_add_f64 v[38:39], v[38:39], v[141:142]
	v_add_f64 v[36:37], v[36:37], v[104:105]
	v_add_f64 v[104:105], v[131:132], v[112:113]
	v_add_f64 v[112:113], v[129:130], v[127:128]
	v_add_f64 v[34:35], v[34:35], v[50:51]
	v_add_f64 v[32:33], v[32:33], v[48:49]
	;; [unrolled: 8-line block ×3, first 2 shown]
	v_add_f64 v[52:53], v[234:235], -v[110:111]
	v_add_f64 v[30:31], v[30:31], v[84:85]
	v_add_f64 v[54:55], v[252:253], -v[114:115]
	v_add_f64 v[46:47], v[219:220], -v[155:156]
	v_mul_f64 v[177:178], v[171:172], s[4:5]
	v_add_f64 v[40:41], v[40:41], v[42:43]
	v_add_f64 v[42:43], v[230:231], -v[80:81]
	v_add_f64 v[34:35], v[34:35], v[58:59]
	v_add_f64 v[32:33], v[32:33], v[56:57]
	;; [unrolled: 1-line block ×4, first 2 shown]
	v_add_f64 v[58:59], v[250:251], -v[86:87]
	v_mul_f64 v[179:180], v[169:170], s[22:23]
	v_mul_f64 v[199:200], v[171:172], s[22:23]
	v_add_f64 v[42:43], v[28:29], v[42:43]
	v_add_f64 v[28:29], v[28:29], v[52:53]
	;; [unrolled: 1-line block ×5, first 2 shown]
	v_add_f64 v[52:53], v[205:206], -v[119:120]
	v_add_f64 v[60:61], v[96:97], v[207:208]
	v_mul_f64 v[171:172], v[171:172], s[20:21]
	v_add_f64 v[42:43], v[82:83], v[42:43]
	v_add_f64 v[28:29], v[54:55], v[28:29]
	v_add_f64 v[34:35], v[34:35], v[66:67]
	v_add_f64 v[32:33], v[32:33], v[64:65]
	v_add_f64 v[30:31], v[56:57], v[30:31]
	v_add_f64 v[56:57], v[201:202], -v[90:91]
	v_add_f64 v[54:55], v[191:192], -v[121:122]
	v_mul_f64 v[217:218], v[169:170], s[4:5]
	v_add_f64 v[42:43], v[58:59], v[42:43]
	v_add_f64 v[28:29], v[52:53], v[28:29]
	;; [unrolled: 1-line block ×6, first 2 shown]
	v_add_f64 v[60:61], v[117:118], -v[98:99]
	v_add_f64 v[52:53], v[193:194], -v[125:126]
	v_add_f64 v[42:43], v[56:57], v[42:43]
	v_add_f64 v[28:29], v[54:55], v[28:29]
	v_mul_f64 v[240:241], v[169:170], s[20:21]
	v_add_f64 v[50:51], v[181:182], -v[159:160]
	v_add_f64 v[38:39], v[46:47], v[38:39]
	v_mul_f64 v[183:184], v[169:170], s[16:17]
	v_mul_f64 v[169:170], v[169:170], s[8:9]
	v_add_f64 v[46:47], v[153:154], v[177:178]
	v_add_f64 v[64:65], v[34:35], v[74:75]
	;; [unrolled: 1-line block ×6, first 2 shown]
	v_add_f64 v[62:63], v[179:180], -v[106:107]
	v_add_f64 v[60:61], v[60:61], v[42:43]
	v_add_f64 v[54:55], v[217:218], -v[135:136]
	v_add_f64 v[28:29], v[52:53], v[28:29]
	;; [unrolled: 2-line block ×3, first 2 shown]
	v_add_f64 v[169:170], v[169:170], -v[197:198]
	v_add_f64 v[183:184], v[183:184], -v[209:210]
	v_add_f64 v[189:190], v[215:216], v[189:190]
	v_add_f64 v[34:35], v[46:47], v[40:41]
	;; [unrolled: 1-line block ×12, first 2 shown]
	v_lshlrev_b32_e32 v44, 4, v227
	ds_write_b128 v44, v[40:43]
	ds_write_b128 v44, v[36:39] offset:16
	ds_write_b128 v44, v[32:35] offset:32
	ds_write_b128 v44, v[28:31] offset:48
	ds_write_b128 v44, v[100:103] offset:64
	ds_write_b128 v44, v[92:95] offset:80
	ds_write_b128 v44, v[12:15] offset:96
	ds_write_b128 v44, v[24:27] offset:112
	ds_write_b128 v44, v[16:19] offset:128
	ds_write_b128 v44, v[20:23] offset:144
	ds_write_b128 v44, v[8:11] offset:160
	ds_write_b128 v44, v[4:7] offset:176
	ds_write_b128 v44, v[0:3] offset:192
.LBB0_7:
	s_or_b64 exec, exec, s[18:19]
	s_movk_i32 s8, 0x75
	v_add_co_u32_e32 v72, vcc, s8, v226
	s_movk_i32 s8, 0x4f
	v_mul_lo_u16_sdwa v28, v226, s8 dst_sel:DWORD dst_unused:UNUSED_PAD src0_sel:BYTE_0 src1_sel:DWORD
	v_lshrrev_b16_e32 v70, 10, v28
	v_mul_lo_u16_e32 v28, 13, v70
	v_sub_u16_e32 v28, v226, v28
	v_and_b32_e32 v71, 0xff, v28
	v_lshlrev_b32_e32 v36, 5, v71
	s_load_dwordx4 s[4:7], s[6:7], 0x0
	s_waitcnt lgkmcnt(0)
	s_barrier
	global_load_dwordx4 v[28:31], v36, s[2:3] offset:16
	global_load_dwordx4 v[32:35], v36, s[2:3]
	v_mul_lo_u16_sdwa v36, v72, s8 dst_sel:DWORD dst_unused:UNUSED_PAD src0_sel:BYTE_0 src1_sel:DWORD
	v_lshrrev_b16_e32 v73, 10, v36
	v_mul_lo_u16_e32 v36, 13, v73
	v_sub_u16_e32 v36, v72, v36
	v_and_b32_e32 v74, 0xff, v36
	v_lshlrev_b32_e32 v44, 5, v74
	global_load_dwordx4 v[40:43], v44, s[2:3]
	global_load_dwordx4 v[36:39], v44, s[2:3] offset:16
	s_movk_i32 s16, 0xa5
	v_mul_lo_u16_sdwa v75, v226, s16 dst_sel:DWORD dst_unused:UNUSED_PAD src0_sel:BYTE_0 src1_sel:DWORD
	v_sub_u16_sdwa v76, v226, v75 dst_sel:DWORD dst_unused:UNUSED_PAD src0_sel:DWORD src1_sel:BYTE_1
	v_mov_b32_e32 v44, 4
	v_lshrrev_b16_e32 v76, 1, v76
	v_lshlrev_b32_sdwa v165, v44, v226 dst_sel:DWORD dst_unused:UNUSED_PAD src0_sel:DWORD src1_sel:WORD_0
	v_and_b32_e32 v76, 0x7f, v76
	ds_read_b128 v[44:47], v165
	ds_read_b128 v[48:51], v165 offset:1872
	ds_read_b128 v[52:55], v165 offset:3744
	;; [unrolled: 1-line block ×5, first 2 shown]
	v_mul_u32_u24_e32 v70, 39, v70
	v_add_u16_sdwa v75, v76, v75 dst_sel:DWORD dst_unused:UNUSED_PAD src0_sel:DWORD src1_sel:BYTE_1
	v_add_lshl_u32 v167, v70, v71, 4
	v_lshrrev_b16_e32 v70, 5, v75
	v_and_b32_e32 v89, 7, v70
	v_mul_u32_u24_e32 v73, 39, v73
	v_mul_lo_u16_e32 v70, 39, v89
	v_add_lshl_u32 v166, v73, v74, 4
	v_sub_u16_e32 v87, v226, v70
	v_and_b32_e32 v90, 0xff, v87
	s_mov_b32 s8, 0xe8584caa
	s_mov_b32 s9, 0x3febb67a
	;; [unrolled: 1-line block ×4, first 2 shown]
	v_mov_b32_e32 v69, s3
	s_movk_i32 s17, 0x50
	v_mov_b32_e32 v68, s2
	v_mad_u64_u32 v[68:69], s[16:17], v90, s17, v[68:69]
	s_waitcnt vmcnt(0) lgkmcnt(0)
	s_barrier
	s_movk_i32 s16, 0xea
	v_lshlrev_b32_e32 v109, 5, v226
	v_mul_f64 v[75:76], v[62:63], v[30:31]
	v_mul_f64 v[70:71], v[54:55], v[34:35]
	;; [unrolled: 1-line block ×8, first 2 shown]
	v_fma_f64 v[52:53], v[52:53], v[32:33], -v[70:71]
	v_fma_f64 v[54:55], v[54:55], v[32:33], v[73:74]
	v_fma_f64 v[60:61], v[60:61], v[28:29], -v[75:76]
	v_fma_f64 v[62:63], v[62:63], v[28:29], v[77:78]
	v_fma_f64 v[56:57], v[56:57], v[40:41], -v[79:80]
	v_fma_f64 v[58:59], v[58:59], v[40:41], v[81:82]
	v_fma_f64 v[64:65], v[64:65], v[36:37], -v[83:84]
	v_fma_f64 v[66:67], v[66:67], v[36:37], v[85:86]
	v_add_f64 v[70:71], v[44:45], v[52:53]
	v_add_f64 v[77:78], v[46:47], v[54:55]
	;; [unrolled: 1-line block ×3, first 2 shown]
	v_add_f64 v[75:76], v[54:55], -v[62:63]
	v_add_f64 v[54:55], v[54:55], v[62:63]
	v_add_f64 v[85:86], v[50:51], v[58:59]
	;; [unrolled: 1-line block ×3, first 2 shown]
	v_add_f64 v[83:84], v[58:59], -v[66:67]
	v_add_f64 v[58:59], v[58:59], v[66:67]
	v_add_f64 v[79:80], v[52:53], -v[60:61]
	v_add_f64 v[52:53], v[48:49], v[56:57]
	v_add_f64 v[87:88], v[56:57], -v[64:65]
	v_fma_f64 v[56:57], v[73:74], -0.5, v[44:45]
	v_add_f64 v[44:45], v[70:71], v[60:61]
	v_fma_f64 v[60:61], v[54:55], -0.5, v[46:47]
	v_add_f64 v[46:47], v[77:78], v[62:63]
	v_fma_f64 v[62:63], v[81:82], -0.5, v[48:49]
	v_fma_f64 v[70:71], v[58:59], -0.5, v[50:51]
	v_add_f64 v[48:49], v[52:53], v[64:65]
	v_add_f64 v[50:51], v[85:86], v[66:67]
	v_fma_f64 v[52:53], v[75:76], s[8:9], v[56:57]
	v_fma_f64 v[56:57], v[75:76], s[10:11], v[56:57]
	;; [unrolled: 1-line block ×8, first 2 shown]
	ds_write_b128 v167, v[44:47]
	ds_write_b128 v167, v[52:55] offset:208
	ds_write_b128 v167, v[56:59] offset:416
	ds_write_b128 v166, v[48:51]
	ds_write_b128 v166, v[60:63] offset:208
	ds_write_b128 v166, v[64:67] offset:416
	s_waitcnt lgkmcnt(0)
	s_barrier
	global_load_dwordx4 v[44:47], v[68:69], off offset:416
	global_load_dwordx4 v[52:55], v[68:69], off offset:432
	;; [unrolled: 1-line block ×5, first 2 shown]
	v_mul_u32_u24_sdwa v64, v89, s16 dst_sel:DWORD dst_unused:UNUSED_PAD src0_sel:WORD_0 src1_sel:DWORD
	v_add_lshl_u32 v168, v64, v90, 4
	ds_read_b128 v[64:67], v165
	ds_read_b128 v[68:71], v165 offset:1872
	ds_read_b128 v[73:76], v165 offset:3744
	;; [unrolled: 1-line block ×5, first 2 shown]
	s_waitcnt vmcnt(0) lgkmcnt(0)
	s_barrier
	v_mul_f64 v[89:90], v[70:71], v[46:47]
	v_mul_f64 v[91:92], v[68:69], v[46:47]
	;; [unrolled: 1-line block ×10, first 2 shown]
	v_fma_f64 v[77:78], v[77:78], v[48:49], -v[95:96]
	v_fma_f64 v[79:80], v[79:80], v[48:49], v[97:98]
	v_fma_f64 v[87:88], v[87:88], v[56:57], v[99:100]
	v_fma_f64 v[85:86], v[85:86], v[56:57], -v[101:102]
	v_fma_f64 v[73:74], v[73:74], v[52:53], -v[93:94]
	;; [unrolled: 1-line block ×3, first 2 shown]
	v_fma_f64 v[70:71], v[70:71], v[44:45], v[91:92]
	v_fma_f64 v[75:76], v[75:76], v[52:53], v[103:104]
	v_fma_f64 v[81:82], v[81:82], v[60:61], -v[105:106]
	v_fma_f64 v[83:84], v[83:84], v[60:61], v[107:108]
	v_add_f64 v[89:90], v[79:80], v[87:88]
	v_add_f64 v[91:92], v[77:78], v[85:86]
	;; [unrolled: 1-line block ×3, first 2 shown]
	v_add_f64 v[101:102], v[79:80], -v[87:88]
	v_add_f64 v[103:104], v[77:78], -v[85:86]
	v_add_f64 v[99:100], v[66:67], v[75:76]
	v_add_f64 v[95:96], v[73:74], v[81:82]
	v_add_f64 v[97:98], v[75:76], -v[83:84]
	v_fma_f64 v[89:90], v[89:90], -0.5, v[70:71]
	v_fma_f64 v[91:92], v[91:92], -0.5, v[68:69]
	v_add_f64 v[75:76], v[75:76], v[83:84]
	v_add_f64 v[73:74], v[73:74], -v[81:82]
	v_add_f64 v[68:69], v[68:69], v[77:78]
	v_add_f64 v[70:71], v[70:71], v[79:80]
	;; [unrolled: 1-line block ×3, first 2 shown]
	v_fma_f64 v[64:65], v[95:96], -0.5, v[64:65]
	v_fma_f64 v[79:80], v[103:104], s[10:11], v[89:90]
	v_fma_f64 v[81:82], v[101:102], s[10:11], v[91:92]
	;; [unrolled: 1-line block ×4, first 2 shown]
	v_fma_f64 v[66:67], v[75:76], -0.5, v[66:67]
	v_add_f64 v[70:71], v[70:71], v[87:88]
	v_add_f64 v[68:69], v[68:69], v[85:86]
	;; [unrolled: 1-line block ×3, first 2 shown]
	v_mul_f64 v[75:76], v[79:80], s[8:9]
	v_mul_f64 v[85:86], v[81:82], -0.5
	v_mul_f64 v[87:88], v[91:92], s[10:11]
	v_mul_f64 v[93:94], v[89:90], -0.5
	v_fma_f64 v[95:96], v[97:98], s[8:9], v[64:65]
	v_fma_f64 v[99:100], v[73:74], s[10:11], v[66:67]
	;; [unrolled: 1-line block ×4, first 2 shown]
	v_fma_f64 v[91:92], v[91:92], 0.5, v[75:76]
	v_fma_f64 v[85:86], v[89:90], s[8:9], v[85:86]
	v_fma_f64 v[87:88], v[79:80], 0.5, v[87:88]
	v_fma_f64 v[89:90], v[81:82], s[10:11], v[93:94]
	v_add_f64 v[64:65], v[77:78], v[68:69]
	v_add_f64 v[66:67], v[83:84], v[70:71]
	v_add_f64 v[68:69], v[77:78], -v[68:69]
	v_add_f64 v[70:71], v[83:84], -v[70:71]
	v_add_f64 v[73:74], v[95:96], v[91:92]
	v_add_f64 v[77:78], v[97:98], v[85:86]
	;; [unrolled: 1-line block ×4, first 2 shown]
	v_add_f64 v[81:82], v[95:96], -v[91:92]
	v_add_f64 v[83:84], v[99:100], -v[87:88]
	v_add_f64 v[85:86], v[97:98], -v[85:86]
	v_add_f64 v[87:88], v[101:102], -v[89:90]
	ds_write_b128 v168, v[64:67]
	ds_write_b128 v168, v[68:71] offset:1872
	ds_write_b128 v168, v[73:76] offset:624
	;; [unrolled: 1-line block ×5, first 2 shown]
	v_lshlrev_b32_e32 v80, 5, v72
	s_waitcnt lgkmcnt(0)
	s_barrier
	global_load_dwordx4 v[68:71], v109, s[2:3] offset:3536
	global_load_dwordx4 v[64:67], v109, s[2:3] offset:3552
	global_load_dwordx4 v[76:79], v80, s[2:3] offset:3536
	global_load_dwordx4 v[72:75], v80, s[2:3] offset:3552
	ds_read_b128 v[80:83], v165 offset:3744
	ds_read_b128 v[84:87], v165 offset:7488
	;; [unrolled: 1-line block ×4, first 2 shown]
	s_waitcnt vmcnt(3) lgkmcnt(3)
	v_mul_f64 v[96:97], v[82:83], v[70:71]
	v_mul_f64 v[98:99], v[80:81], v[70:71]
	s_waitcnt vmcnt(2) lgkmcnt(2)
	v_mul_f64 v[100:101], v[86:87], v[66:67]
	v_mul_f64 v[102:103], v[84:85], v[66:67]
	;; [unrolled: 3-line block ×4, first 2 shown]
	v_fma_f64 v[96:97], v[80:81], v[68:69], -v[96:97]
	v_fma_f64 v[98:99], v[82:83], v[68:69], v[98:99]
	v_fma_f64 v[100:101], v[84:85], v[64:65], -v[100:101]
	v_fma_f64 v[102:103], v[86:87], v[64:65], v[102:103]
	;; [unrolled: 2-line block ×4, first 2 shown]
	ds_read_b128 v[80:83], v165
	ds_read_b128 v[84:87], v165 offset:1872
	v_add_f64 v[106:107], v[96:97], v[100:101]
	v_add_f64 v[108:109], v[98:99], -v[102:103]
	s_waitcnt lgkmcnt(1)
	v_add_f64 v[104:105], v[80:81], v[96:97]
	v_add_f64 v[110:111], v[82:83], v[98:99]
	;; [unrolled: 1-line block ×4, first 2 shown]
	v_add_f64 v[117:118], v[90:91], -v[94:95]
	s_waitcnt lgkmcnt(0)
	v_add_f64 v[119:120], v[86:87], v[90:91]
	v_add_f64 v[90:91], v[90:91], v[94:95]
	v_add_f64 v[96:97], v[96:97], -v[100:101]
	v_add_f64 v[112:113], v[84:85], v[88:89]
	v_add_f64 v[121:122], v[88:89], -v[92:93]
	v_fma_f64 v[106:107], v[106:107], -0.5, v[80:81]
	v_add_f64 v[80:81], v[104:105], v[100:101]
	v_fma_f64 v[98:99], v[98:99], -0.5, v[82:83]
	v_add_f64 v[82:83], v[110:111], v[102:103]
	v_fma_f64 v[100:101], v[114:115], -0.5, v[84:85]
	v_fma_f64 v[102:103], v[90:91], -0.5, v[86:87]
	v_add_f64 v[88:89], v[112:113], v[92:93]
	v_add_f64 v[90:91], v[119:120], v[94:95]
	v_fma_f64 v[84:85], v[108:109], s[8:9], v[106:107]
	v_fma_f64 v[92:93], v[108:109], s[10:11], v[106:107]
	;; [unrolled: 1-line block ×8, first 2 shown]
	ds_write_b128 v165, v[80:83]
	ds_write_b128 v165, v[88:91] offset:1872
	ds_write_b128 v165, v[84:87] offset:3744
	;; [unrolled: 1-line block ×5, first 2 shown]
	s_waitcnt lgkmcnt(0)
	s_barrier
	s_and_saveexec_b64 s[8:9], s[0:1]
	s_cbranch_execz .LBB0_9
; %bb.8:
	v_mov_b32_e32 v104, s15
	v_add_co_u32_e32 v149, vcc, s14, v225
	v_addc_co_u32_e32 v150, vcc, 0, v104, vcc
	v_add_co_u32_e32 v121, vcc, 0x2be0, v149
	s_mov_b64 s[2:3], vcc
	v_add_co_u32_e32 v104, vcc, 0x2000, v149
	v_addc_co_u32_e32 v105, vcc, 0, v150, vcc
	global_load_dwordx4 v[104:107], v[104:105], off offset:3040
	v_addc_co_u32_e64 v122, vcc, 0, v150, s[2:3]
	global_load_dwordx4 v[108:111], v[121:122], off offset:864
	s_movk_i32 s10, 0x3000
	v_add_co_u32_e32 v125, vcc, s10, v149
	s_movk_i32 s11, 0x4000
	v_addc_co_u32_e32 v126, vcc, 0, v150, vcc
	v_add_co_u32_e32 v145, vcc, s11, v149
	global_load_dwordx4 v[112:115], v[121:122], off offset:1728
	global_load_dwordx4 v[117:120], v[121:122], off offset:2592
	s_nop 0
	global_load_dwordx4 v[121:124], v[121:122], off offset:3456
	s_nop 0
	global_load_dwordx4 v[125:128], v[125:126], off offset:3264
	v_addc_co_u32_e32 v146, vcc, 0, v150, vcc
	global_load_dwordx4 v[129:132], v[145:146], off offset:32
	s_movk_i32 s2, 0x5000
	v_add_co_u32_e32 v153, vcc, s2, v149
	v_addc_co_u32_e32 v154, vcc, 0, v150, vcc
	global_load_dwordx4 v[133:136], v[145:146], off offset:896
	global_load_dwordx4 v[137:140], v[145:146], off offset:1760
	;; [unrolled: 1-line block ×3, first 2 shown]
	s_nop 0
	global_load_dwordx4 v[145:148], v[145:146], off offset:3488
	s_nop 0
	global_load_dwordx4 v[149:152], v[153:154], off offset:256
	;; [unrolled: 2-line block ×3, first 2 shown]
	ds_read_b128 v[157:160], v165
	s_waitcnt vmcnt(12) lgkmcnt(0)
	v_mul_f64 v[161:162], v[159:160], v[106:107]
	v_mul_f64 v[106:107], v[157:158], v[106:107]
	v_fma_f64 v[157:158], v[157:158], v[104:105], -v[161:162]
	v_fma_f64 v[159:160], v[159:160], v[104:105], v[106:107]
	ds_write_b128 v165, v[157:160]
	ds_read_b128 v[104:107], v225 offset:864
	ds_read_b128 v[157:160], v225 offset:1728
	;; [unrolled: 1-line block ×12, first 2 shown]
	s_waitcnt vmcnt(11) lgkmcnt(11)
	v_mul_f64 v[205:206], v[106:107], v[110:111]
	v_mul_f64 v[110:111], v[104:105], v[110:111]
	s_waitcnt vmcnt(10) lgkmcnt(10)
	v_mul_f64 v[207:208], v[159:160], v[114:115]
	v_mul_f64 v[114:115], v[157:158], v[114:115]
	s_waitcnt vmcnt(9) lgkmcnt(9)
	v_mul_f64 v[209:210], v[163:164], v[119:120]
	v_mul_f64 v[119:120], v[161:162], v[119:120]
	s_waitcnt vmcnt(8) lgkmcnt(8)
	v_mul_f64 v[211:212], v[171:172], v[123:124]
	v_mul_f64 v[123:124], v[169:170], v[123:124]
	s_waitcnt vmcnt(7) lgkmcnt(7)
	v_mul_f64 v[213:214], v[175:176], v[127:128]
	v_mul_f64 v[127:128], v[173:174], v[127:128]
	s_waitcnt vmcnt(6) lgkmcnt(6)
	v_mul_f64 v[215:216], v[179:180], v[131:132]
	v_mul_f64 v[131:132], v[177:178], v[131:132]
	s_waitcnt vmcnt(5) lgkmcnt(5)
	v_mul_f64 v[217:218], v[183:184], v[135:136]
	v_mul_f64 v[135:136], v[181:182], v[135:136]
	s_waitcnt vmcnt(4) lgkmcnt(4)
	v_mul_f64 v[219:220], v[187:188], v[139:140]
	v_mul_f64 v[139:140], v[185:186], v[139:140]
	s_waitcnt vmcnt(3) lgkmcnt(3)
	v_mul_f64 v[221:222], v[191:192], v[143:144]
	v_mul_f64 v[143:144], v[189:190], v[143:144]
	s_waitcnt vmcnt(2) lgkmcnt(2)
	v_mul_f64 v[223:224], v[195:196], v[147:148]
	v_mul_f64 v[147:148], v[193:194], v[147:148]
	s_waitcnt vmcnt(1) lgkmcnt(1)
	v_mul_f64 v[228:229], v[199:200], v[151:152]
	v_mul_f64 v[151:152], v[197:198], v[151:152]
	s_waitcnt vmcnt(0) lgkmcnt(0)
	v_mul_f64 v[230:231], v[203:204], v[155:156]
	v_mul_f64 v[155:156], v[201:202], v[155:156]
	v_fma_f64 v[104:105], v[104:105], v[108:109], -v[205:206]
	v_fma_f64 v[106:107], v[106:107], v[108:109], v[110:111]
	v_fma_f64 v[108:109], v[157:158], v[112:113], -v[207:208]
	v_fma_f64 v[110:111], v[159:160], v[112:113], v[114:115]
	v_fma_f64 v[112:113], v[161:162], v[117:118], -v[209:210]
	v_fma_f64 v[114:115], v[163:164], v[117:118], v[119:120]
	v_fma_f64 v[117:118], v[169:170], v[121:122], -v[211:212]
	v_fma_f64 v[119:120], v[171:172], v[121:122], v[123:124]
	v_fma_f64 v[121:122], v[173:174], v[125:126], -v[213:214]
	v_fma_f64 v[123:124], v[175:176], v[125:126], v[127:128]
	v_fma_f64 v[125:126], v[177:178], v[129:130], -v[215:216]
	v_fma_f64 v[127:128], v[179:180], v[129:130], v[131:132]
	v_fma_f64 v[129:130], v[181:182], v[133:134], -v[217:218]
	v_fma_f64 v[131:132], v[183:184], v[133:134], v[135:136]
	v_fma_f64 v[133:134], v[185:186], v[137:138], -v[219:220]
	v_fma_f64 v[135:136], v[187:188], v[137:138], v[139:140]
	v_fma_f64 v[137:138], v[189:190], v[141:142], -v[221:222]
	v_fma_f64 v[139:140], v[191:192], v[141:142], v[143:144]
	v_fma_f64 v[141:142], v[193:194], v[145:146], -v[223:224]
	v_fma_f64 v[143:144], v[195:196], v[145:146], v[147:148]
	v_fma_f64 v[145:146], v[197:198], v[149:150], -v[228:229]
	v_fma_f64 v[147:148], v[199:200], v[149:150], v[151:152]
	v_fma_f64 v[149:150], v[201:202], v[153:154], -v[230:231]
	v_fma_f64 v[151:152], v[203:204], v[153:154], v[155:156]
	ds_write_b128 v225, v[104:107] offset:864
	ds_write_b128 v225, v[108:111] offset:1728
	;; [unrolled: 1-line block ×12, first 2 shown]
.LBB0_9:
	s_or_b64 exec, exec, s[8:9]
	s_waitcnt lgkmcnt(0)
	s_barrier
	s_and_saveexec_b64 s[2:3], s[0:1]
	s_cbranch_execz .LBB0_11
; %bb.10:
	ds_read_b128 v[80:83], v165
	ds_read_b128 v[84:87], v165 offset:864
	ds_read_b128 v[92:95], v165 offset:1728
	;; [unrolled: 1-line block ×12, first 2 shown]
.LBB0_11:
	s_or_b64 exec, exec, s[2:3]
	s_waitcnt lgkmcnt(0)
	s_barrier
	s_and_saveexec_b64 s[2:3], s[0:1]
	s_cbranch_execz .LBB0_13
; %bb.12:
	v_add_f64 v[163:164], v[84:85], -v[0:1]
	s_mov_b32 s20, 0x4bc48dbf
	s_mov_b32 s21, 0xbfcea1e5
	v_add_f64 v[161:162], v[92:93], -v[4:5]
	v_add_f64 v[131:132], v[86:87], v[2:3]
	s_mov_b32 s18, 0x93053d00
	s_mov_b32 s23, 0x3fddbe06
	;; [unrolled: 1-line block ×3, first 2 shown]
	v_mul_f64 v[112:113], v[163:164], s[20:21]
	s_mov_b32 s19, 0xbfef11f4
	v_add_f64 v[135:136], v[88:89], -v[8:9]
	v_mul_f64 v[114:115], v[161:162], s[22:23]
	v_add_f64 v[127:128], v[94:95], v[6:7]
	v_add_f64 v[143:144], v[86:87], -v[2:3]
	s_mov_b32 s28, 0x24c2f84
	s_mov_b32 s24, 0xe00740e9
	v_fma_f64 v[133:134], v[131:132], s[18:19], v[112:113]
	s_mov_b32 s29, 0xbfe5384d
	s_mov_b32 s25, 0x3fec55a7
	v_add_f64 v[125:126], v[96:97], -v[20:21]
	v_mul_f64 v[147:148], v[135:136], s[28:29]
	v_add_f64 v[129:130], v[90:91], v[10:11]
	v_fma_f64 v[137:138], v[127:128], s[24:25], v[114:115]
	v_add_f64 v[141:142], v[94:95], -v[6:7]
	v_add_f64 v[145:146], v[82:83], v[133:134]
	v_add_f64 v[139:140], v[84:85], v[0:1]
	v_mul_f64 v[153:154], v[143:144], s[20:21]
	s_mov_b32 s40, 0x42a4c3d2
	s_mov_b32 s26, 0xd0032e0c
	;; [unrolled: 1-line block ×4, first 2 shown]
	v_mul_f64 v[110:111], v[125:126], s[40:41]
	v_add_f64 v[133:134], v[98:99], v[22:23]
	v_fma_f64 v[149:150], v[129:130], s[26:27], v[147:148]
	v_add_f64 v[151:152], v[137:138], v[145:146]
	v_add_f64 v[145:146], v[90:91], -v[10:11]
	v_add_f64 v[137:138], v[92:93], v[4:5]
	v_mul_f64 v[169:170], v[141:142], s[22:23]
	v_fma_f64 v[157:158], v[139:140], s[18:19], -v[153:154]
	v_fma_f64 v[112:113], v[131:132], s[18:19], -v[112:113]
	s_mov_b32 s30, 0x1ea71119
	s_mov_b32 s31, 0x3fe22d96
	v_add_f64 v[123:124], v[100:101], -v[16:17]
	v_fma_f64 v[159:160], v[133:134], s[30:31], v[110:111]
	v_add_f64 v[149:150], v[149:150], v[151:152]
	v_add_f64 v[155:156], v[98:99], -v[22:23]
	v_add_f64 v[151:152], v[88:89], v[8:9]
	v_mul_f64 v[171:172], v[145:146], s[28:29]
	v_fma_f64 v[173:174], v[137:138], s[24:25], -v[169:170]
	v_add_f64 v[175:176], v[80:81], v[157:158]
	v_fma_f64 v[114:115], v[127:128], s[24:25], -v[114:115]
	v_add_f64 v[112:113], v[82:83], v[112:113]
	s_mov_b32 s16, 0x2ef20147
	s_mov_b32 s17, 0xbfedeba7
	v_add_f64 v[121:122], v[12:13], -v[24:25]
	v_add_f64 v[119:120], v[102:103], v[18:19]
	v_mul_f64 v[104:105], v[123:124], s[16:17]
	v_add_f64 v[177:178], v[159:160], v[149:150]
	v_add_f64 v[157:158], v[102:103], -v[18:19]
	v_add_f64 v[149:150], v[96:97], v[20:21]
	v_mul_f64 v[179:180], v[155:156], s[40:41]
	v_fma_f64 v[181:182], v[151:152], s[26:27], -v[171:172]
	v_add_f64 v[173:174], v[173:174], v[175:176]
	v_fma_f64 v[175:176], v[129:130], s[26:27], -v[147:148]
	v_add_f64 v[112:113], v[114:115], v[112:113]
	v_fma_f64 v[185:186], v[139:140], s[18:19], v[153:154]
	s_mov_b32 s34, 0x66966769
	s_mov_b32 s10, 0xb2365da1
	;; [unrolled: 1-line block ×4, first 2 shown]
	v_add_f64 v[117:118], v[14:15], v[26:27]
	v_mul_f64 v[106:107], v[121:122], s[34:35]
	v_fma_f64 v[108:109], v[119:120], s[10:11], v[104:105]
	v_add_f64 v[159:160], v[14:15], -v[26:27]
	v_add_f64 v[147:148], v[100:101], v[16:17]
	v_mul_f64 v[114:115], v[157:158], s[16:17]
	v_fma_f64 v[183:184], v[149:150], s[30:31], -v[179:180]
	v_add_f64 v[173:174], v[181:182], v[173:174]
	v_fma_f64 v[110:111], v[133:134], s[30:31], -v[110:111]
	v_add_f64 v[112:113], v[175:176], v[112:113]
	v_fma_f64 v[169:170], v[137:138], s[24:25], v[169:170]
	v_add_f64 v[185:186], v[80:81], v[185:186]
	s_mov_b32 s8, 0xebaa3ed8
	s_mov_b32 s9, 0x3fbedb7d
	v_add_f64 v[153:154], v[12:13], v[24:25]
	v_mul_f64 v[175:176], v[159:160], s[34:35]
	v_fma_f64 v[181:182], v[147:148], s[10:11], -v[114:115]
	v_add_f64 v[173:174], v[183:184], v[173:174]
	v_add_f64 v[110:111], v[110:111], v[112:113]
	v_fma_f64 v[112:113], v[117:118], s[8:9], v[106:107]
	v_add_f64 v[108:109], v[108:109], v[177:178]
	v_fma_f64 v[171:172], v[151:152], s[26:27], v[171:172]
	v_add_f64 v[169:170], v[169:170], v[185:186]
	v_mul_f64 v[183:184], v[163:164], s[28:29]
	v_fma_f64 v[104:105], v[119:120], s[10:11], -v[104:105]
	v_fma_f64 v[177:178], v[153:154], s[8:9], -v[175:176]
	v_add_f64 v[173:174], v[181:182], v[173:174]
	v_fma_f64 v[181:182], v[117:118], s[8:9], -v[106:107]
	v_add_f64 v[106:107], v[112:113], v[108:109]
	v_mul_f64 v[112:113], v[161:162], s[34:35]
	v_add_f64 v[169:170], v[171:172], v[169:170]
	v_fma_f64 v[171:172], v[131:132], s[26:27], v[183:184]
	v_fma_f64 v[183:184], v[131:132], s[26:27], -v[183:184]
	s_mov_b32 s37, 0xbfea55e2
	s_mov_b32 s36, s40
	v_add_f64 v[110:111], v[104:105], v[110:111]
	v_fma_f64 v[179:180], v[149:150], s[30:31], v[179:180]
	v_add_f64 v[104:105], v[177:178], v[173:174]
	v_fma_f64 v[108:109], v[153:154], s[8:9], v[175:176]
	v_mul_f64 v[173:174], v[143:144], s[28:29]
	v_mul_f64 v[175:176], v[135:136], s[36:37]
	v_fma_f64 v[177:178], v[127:128], s[8:9], v[112:113]
	v_add_f64 v[171:172], v[82:83], v[171:172]
	v_fma_f64 v[112:113], v[127:128], s[8:9], -v[112:113]
	v_add_f64 v[183:184], v[82:83], v[183:184]
	s_mov_b32 s45, 0x3fcea1e5
	s_mov_b32 s44, s20
	v_add_f64 v[110:111], v[181:182], v[110:111]
	v_add_f64 v[169:170], v[179:180], v[169:170]
	v_mul_f64 v[179:180], v[141:142], s[34:35]
	v_fma_f64 v[181:182], v[139:140], s[26:27], -v[173:174]
	v_mul_f64 v[185:186], v[125:126], s[44:45]
	v_fma_f64 v[187:188], v[129:130], s[30:31], v[175:176]
	v_add_f64 v[171:172], v[177:178], v[171:172]
	v_fma_f64 v[175:176], v[129:130], s[30:31], -v[175:176]
	v_add_f64 v[112:113], v[112:113], v[183:184]
	v_mul_f64 v[177:178], v[123:124], s[22:23]
	v_mul_f64 v[189:190], v[145:146], s[36:37]
	v_fma_f64 v[191:192], v[137:138], s[8:9], -v[179:180]
	v_add_f64 v[181:182], v[80:81], v[181:182]
	v_fma_f64 v[193:194], v[133:134], s[18:19], v[185:186]
	v_add_f64 v[171:172], v[187:188], v[171:172]
	v_fma_f64 v[185:186], v[133:134], s[18:19], -v[185:186]
	v_add_f64 v[112:113], v[175:176], v[112:113]
	v_fma_f64 v[173:174], v[139:140], s[26:27], v[173:174]
	v_fma_f64 v[114:115], v[147:148], s[10:11], v[114:115]
	v_mul_f64 v[187:188], v[121:122], s[16:17]
	v_mul_f64 v[195:196], v[155:156], s[44:45]
	v_fma_f64 v[197:198], v[151:152], s[30:31], -v[189:190]
	v_add_f64 v[181:182], v[191:192], v[181:182]
	v_fma_f64 v[191:192], v[119:120], s[24:25], v[177:178]
	v_add_f64 v[171:172], v[193:194], v[171:172]
	v_fma_f64 v[177:178], v[119:120], s[24:25], -v[177:178]
	v_add_f64 v[112:113], v[185:186], v[112:113]
	v_fma_f64 v[179:180], v[137:138], s[8:9], v[179:180]
	v_add_f64 v[173:174], v[80:81], v[173:174]
	v_add_f64 v[114:115], v[114:115], v[169:170]
	v_mul_f64 v[169:170], v[157:158], s[22:23]
	v_fma_f64 v[183:184], v[149:150], s[18:19], -v[195:196]
	v_add_f64 v[181:182], v[197:198], v[181:182]
	v_fma_f64 v[193:194], v[117:118], s[10:11], v[187:188]
	v_add_f64 v[171:172], v[191:192], v[171:172]
	v_mul_f64 v[185:186], v[163:164], s[16:17]
	v_add_f64 v[177:178], v[177:178], v[112:113]
	v_fma_f64 v[112:113], v[151:152], s[30:31], v[189:190]
	v_add_f64 v[173:174], v[179:180], v[173:174]
	v_mul_f64 v[179:180], v[143:144], s[16:17]
	s_mov_b32 s43, 0x3fe5384d
	s_mov_b32 s42, s28
	v_fma_f64 v[191:192], v[147:148], s[24:25], -v[169:170]
	v_add_f64 v[181:182], v[183:184], v[181:182]
	v_add_f64 v[108:109], v[108:109], v[114:115]
	;; [unrolled: 1-line block ×3, first 2 shown]
	v_fma_f64 v[183:184], v[117:118], s[10:11], -v[187:188]
	v_mul_f64 v[187:188], v[161:162], s[42:43]
	v_fma_f64 v[189:190], v[131:132], s[10:11], v[185:186]
	v_add_f64 v[112:113], v[112:113], v[173:174]
	v_mul_f64 v[193:194], v[141:142], s[42:43]
	v_fma_f64 v[173:174], v[139:140], s[10:11], -v[179:180]
	v_fma_f64 v[185:186], v[131:132], s[10:11], -v[185:186]
	v_add_f64 v[181:182], v[191:192], v[181:182]
	v_fma_f64 v[191:192], v[149:150], s[18:19], v[195:196]
	v_mul_f64 v[195:196], v[135:136], s[22:23]
	v_fma_f64 v[197:198], v[127:128], s[26:27], v[187:188]
	v_add_f64 v[189:190], v[82:83], v[189:190]
	v_mul_f64 v[199:200], v[145:146], s[22:23]
	v_fma_f64 v[201:202], v[137:138], s[26:27], -v[193:194]
	v_add_f64 v[173:174], v[80:81], v[173:174]
	v_fma_f64 v[187:188], v[127:128], s[26:27], -v[187:188]
	v_add_f64 v[185:186], v[82:83], v[185:186]
	s_mov_b32 s39, 0xbfefc445
	s_mov_b32 s38, s34
	v_mul_f64 v[175:176], v[159:160], s[16:17]
	v_mul_f64 v[203:204], v[125:126], s[38:39]
	v_fma_f64 v[205:206], v[129:130], s[24:25], v[195:196]
	v_add_f64 v[189:190], v[197:198], v[189:190]
	v_add_f64 v[112:113], v[191:192], v[112:113]
	v_mul_f64 v[191:192], v[155:156], s[38:39]
	v_fma_f64 v[197:198], v[151:152], s[24:25], -v[199:200]
	v_add_f64 v[173:174], v[201:202], v[173:174]
	v_fma_f64 v[195:196], v[129:130], s[24:25], -v[195:196]
	v_add_f64 v[185:186], v[187:188], v[185:186]
	v_fma_f64 v[171:172], v[153:154], s[10:11], -v[175:176]
	v_fma_f64 v[169:170], v[147:148], s[24:25], v[169:170]
	v_mul_f64 v[201:202], v[123:124], s[44:45]
	v_fma_f64 v[207:208], v[133:134], s[8:9], v[203:204]
	v_add_f64 v[189:190], v[205:206], v[189:190]
	v_mul_f64 v[205:206], v[157:158], s[44:45]
	v_fma_f64 v[209:210], v[149:150], s[8:9], -v[191:192]
	v_add_f64 v[173:174], v[197:198], v[173:174]
	v_fma_f64 v[203:204], v[133:134], s[8:9], -v[203:204]
	v_add_f64 v[185:186], v[195:196], v[185:186]
	v_mul_f64 v[197:198], v[121:122], s[40:41]
	v_fma_f64 v[211:212], v[119:120], s[18:19], v[201:202]
	v_add_f64 v[189:190], v[207:208], v[189:190]
	v_mul_f64 v[187:188], v[159:160], s[40:41]
	v_fma_f64 v[207:208], v[147:148], s[18:19], -v[205:206]
	v_add_f64 v[173:174], v[209:210], v[173:174]
	v_add_f64 v[169:170], v[169:170], v[112:113]
	v_add_f64 v[112:113], v[171:172], v[181:182]
	v_add_f64 v[171:172], v[183:184], v[177:178]
	v_fma_f64 v[177:178], v[139:140], s[10:11], v[179:180]
	v_fma_f64 v[179:180], v[119:120], s[18:19], -v[201:202]
	v_add_f64 v[181:182], v[203:204], v[185:186]
	v_fma_f64 v[175:176], v[153:154], s[10:11], v[175:176]
	v_fma_f64 v[209:210], v[117:118], s[30:31], v[197:198]
	v_add_f64 v[189:190], v[211:212], v[189:190]
	v_fma_f64 v[195:196], v[153:154], s[30:31], -v[187:188]
	v_add_f64 v[173:174], v[207:208], v[173:174]
	v_fma_f64 v[183:184], v[137:138], s[26:27], v[193:194]
	v_mul_f64 v[185:186], v[163:164], s[38:39]
	v_add_f64 v[177:178], v[80:81], v[177:178]
	v_add_f64 v[179:180], v[179:180], v[181:182]
	v_fma_f64 v[181:182], v[149:150], s[8:9], v[191:192]
	v_mul_f64 v[191:192], v[143:144], s[38:39]
	v_add_f64 v[169:170], v[175:176], v[169:170]
	v_add_f64 v[175:176], v[209:210], v[189:190]
	;; [unrolled: 1-line block ×3, first 2 shown]
	v_fma_f64 v[189:190], v[117:118], s[30:31], -v[197:198]
	v_fma_f64 v[193:194], v[151:152], s[24:25], v[199:200]
	v_mul_f64 v[195:196], v[161:162], s[20:21]
	v_fma_f64 v[197:198], v[131:132], s[8:9], v[185:186]
	v_add_f64 v[177:178], v[183:184], v[177:178]
	v_mul_f64 v[199:200], v[141:142], s[20:21]
	v_fma_f64 v[183:184], v[139:140], s[8:9], -v[191:192]
	s_mov_b32 s41, 0x3fedeba7
	s_mov_b32 s40, s16
	v_mul_f64 v[201:202], v[135:136], s[40:41]
	v_fma_f64 v[203:204], v[127:128], s[18:19], v[195:196]
	v_add_f64 v[197:198], v[82:83], v[197:198]
	v_add_f64 v[177:178], v[193:194], v[177:178]
	v_fma_f64 v[193:194], v[147:148], s[18:19], v[205:206]
	v_mul_f64 v[205:206], v[145:146], s[40:41]
	v_fma_f64 v[207:208], v[137:138], s[18:19], -v[199:200]
	v_add_f64 v[183:184], v[80:81], v[183:184]
	v_mul_f64 v[209:210], v[125:126], s[22:23]
	v_fma_f64 v[211:212], v[129:130], s[10:11], v[201:202]
	v_add_f64 v[197:198], v[203:204], v[197:198]
	v_add_f64 v[177:178], v[181:182], v[177:178]
	v_mul_f64 v[203:204], v[155:156], s[22:23]
	v_fma_f64 v[181:182], v[151:152], s[10:11], -v[205:206]
	v_fma_f64 v[185:186], v[131:132], s[8:9], -v[185:186]
	v_add_f64 v[183:184], v[207:208], v[183:184]
	v_mul_f64 v[207:208], v[123:124], s[36:37]
	v_fma_f64 v[213:214], v[133:134], s[24:25], v[209:210]
	v_add_f64 v[197:198], v[211:212], v[197:198]
	v_mul_f64 v[211:212], v[157:158], s[36:37]
	v_fma_f64 v[215:216], v[149:150], s[24:25], -v[203:204]
	v_fma_f64 v[195:196], v[127:128], s[18:19], -v[195:196]
	v_add_f64 v[185:186], v[82:83], v[185:186]
	v_add_f64 v[181:182], v[181:182], v[183:184]
	v_mul_f64 v[217:218], v[121:122], s[28:29]
	v_fma_f64 v[183:184], v[119:120], s[30:31], v[207:208]
	v_add_f64 v[197:198], v[213:214], v[197:198]
	v_mul_f64 v[213:214], v[159:160], s[28:29]
	v_fma_f64 v[219:220], v[147:148], s[30:31], -v[211:212]
	v_fma_f64 v[201:202], v[129:130], s[10:11], -v[201:202]
	v_add_f64 v[185:186], v[195:196], v[185:186]
	v_add_f64 v[181:182], v[215:216], v[181:182]
	v_fma_f64 v[187:188], v[153:154], s[30:31], v[187:188]
	v_add_f64 v[177:178], v[193:194], v[177:178]
	v_fma_f64 v[193:194], v[117:118], s[26:27], v[217:218]
	v_add_f64 v[183:184], v[183:184], v[197:198]
	v_fma_f64 v[195:196], v[153:154], s[26:27], -v[213:214]
	v_fma_f64 v[197:198], v[133:134], s[24:25], -v[209:210]
	v_add_f64 v[185:186], v[201:202], v[185:186]
	v_add_f64 v[181:182], v[219:220], v[181:182]
	;; [unrolled: 1-line block ×4, first 2 shown]
	v_fma_f64 v[187:188], v[139:140], s[8:9], v[191:192]
	v_mul_f64 v[191:192], v[163:164], s[36:37]
	v_add_f64 v[183:184], v[193:194], v[183:184]
	v_fma_f64 v[189:190], v[119:120], s[30:31], -v[207:208]
	v_add_f64 v[185:186], v[197:198], v[185:186]
	v_add_f64 v[181:182], v[195:196], v[181:182]
	v_fma_f64 v[193:194], v[137:138], s[18:19], v[199:200]
	v_mul_f64 v[195:196], v[143:144], s[36:37]
	v_add_f64 v[187:188], v[80:81], v[187:188]
	v_mul_f64 v[199:200], v[161:162], s[16:17]
	v_fma_f64 v[201:202], v[131:132], s[30:31], v[191:192]
	v_add_f64 v[86:87], v[82:83], v[86:87]
	v_add_f64 v[185:186], v[189:190], v[185:186]
	v_fma_f64 v[189:190], v[151:152], s[10:11], v[205:206]
	v_mul_f64 v[205:206], v[141:142], s[16:17]
	v_fma_f64 v[207:208], v[139:140], s[30:31], -v[195:196]
	v_add_f64 v[187:188], v[193:194], v[187:188]
	v_mul_f64 v[193:194], v[135:136], s[20:21]
	v_fma_f64 v[209:210], v[127:128], s[10:11], v[199:200]
	v_add_f64 v[201:202], v[82:83], v[201:202]
	v_add_f64 v[84:85], v[80:81], v[84:85]
	v_fma_f64 v[197:198], v[117:118], s[26:27], -v[217:218]
	v_mul_f64 v[215:216], v[145:146], s[20:21]
	v_fma_f64 v[217:218], v[137:138], s[10:11], -v[205:206]
	v_add_f64 v[207:208], v[80:81], v[207:208]
	v_add_f64 v[187:188], v[189:190], v[187:188]
	v_mul_f64 v[189:190], v[125:126], s[42:43]
	v_fma_f64 v[219:220], v[129:130], s[18:19], v[193:194]
	v_add_f64 v[201:202], v[209:210], v[201:202]
	v_add_f64 v[86:87], v[86:87], v[94:95]
	;; [unrolled: 1-line block ×3, first 2 shown]
	v_fma_f64 v[221:222], v[151:152], s[18:19], -v[215:216]
	v_add_f64 v[207:208], v[217:218], v[207:208]
	v_fma_f64 v[191:192], v[131:132], s[30:31], -v[191:192]
	v_fma_f64 v[217:218], v[133:134], s[26:27], v[189:190]
	v_fma_f64 v[199:200], v[127:128], s[10:11], -v[199:200]
	v_add_f64 v[201:202], v[219:220], v[201:202]
	v_add_f64 v[86:87], v[86:87], v[90:91]
	;; [unrolled: 1-line block ×3, first 2 shown]
	v_fma_f64 v[195:196], v[139:140], s[30:31], v[195:196]
	v_add_f64 v[207:208], v[221:222], v[207:208]
	v_mul_f64 v[221:222], v[121:122], s[22:23]
	v_add_f64 v[191:192], v[82:83], v[191:192]
	v_fma_f64 v[203:204], v[149:150], s[24:25], v[203:204]
	v_add_f64 v[201:202], v[217:218], v[201:202]
	v_mul_f64 v[217:218], v[159:160], s[22:23]
	s_mov_b32 s23, 0xbfddbe06
	v_add_f64 v[86:87], v[86:87], v[98:99]
	v_add_f64 v[96:97], v[84:85], v[96:97]
	v_mul_f64 v[163:164], v[163:164], s[22:23]
	v_fma_f64 v[193:194], v[129:130], s[18:19], -v[193:194]
	v_add_f64 v[191:192], v[199:200], v[191:192]
	v_fma_f64 v[199:200], v[137:138], s[10:11], v[205:206]
	v_add_f64 v[195:196], v[80:81], v[195:196]
	v_mul_f64 v[161:162], v[161:162], s[36:37]
	v_add_f64 v[86:87], v[86:87], v[102:103]
	v_add_f64 v[96:97], v[96:97], v[100:101]
	v_fma_f64 v[205:206], v[131:132], s[24:25], v[163:164]
	v_mul_f64 v[100:101], v[143:144], s[22:23]
	v_fma_f64 v[209:210], v[147:148], s[30:31], v[211:212]
	v_mul_f64 v[211:212], v[155:156], s[42:43]
	v_add_f64 v[187:188], v[203:204], v[187:188]
	v_mul_f64 v[203:204], v[123:124], s[34:35]
	v_add_f64 v[14:15], v[86:87], v[14:15]
	v_add_f64 v[12:13], v[96:97], v[12:13]
	v_fma_f64 v[189:190], v[133:134], s[26:27], -v[189:190]
	v_add_f64 v[191:192], v[193:194], v[191:192]
	v_fma_f64 v[193:194], v[151:152], s[18:19], v[215:216]
	v_add_f64 v[195:196], v[199:200], v[195:196]
	v_mul_f64 v[135:136], v[135:136], s[38:39]
	v_fma_f64 v[199:200], v[127:128], s[30:31], v[161:162]
	v_add_f64 v[205:206], v[82:83], v[205:206]
	v_fma_f64 v[131:132], v[131:132], s[24:25], -v[163:164]
	v_mul_f64 v[141:142], v[141:142], s[36:37]
	v_fma_f64 v[86:87], v[139:140], s[24:25], v[100:101]
	v_fma_f64 v[100:101], v[139:140], s[24:25], -v[100:101]
	v_add_f64 v[14:15], v[14:15], v[26:27]
	v_add_f64 v[12:13], v[12:13], v[24:25]
	v_mul_f64 v[219:220], v[157:158], s[34:35]
	v_fma_f64 v[228:229], v[119:120], s[8:9], v[203:204]
	v_fma_f64 v[203:204], v[119:120], s[8:9], -v[203:204]
	v_add_f64 v[92:93], v[189:190], v[191:192]
	v_fma_f64 v[94:95], v[149:150], s[26:27], v[211:212]
	v_add_f64 v[189:190], v[193:194], v[195:196]
	v_mul_f64 v[125:126], v[125:126], s[16:17]
	v_fma_f64 v[191:192], v[129:130], s[8:9], v[135:136]
	v_add_f64 v[193:194], v[199:200], v[205:206]
	v_mul_f64 v[96:97], v[145:146], s[38:39]
	v_fma_f64 v[127:128], v[127:128], s[30:31], -v[161:162]
	v_add_f64 v[82:83], v[82:83], v[131:132]
	v_fma_f64 v[131:132], v[137:138], s[30:31], v[141:142]
	v_add_f64 v[24:25], v[80:81], v[86:87]
	v_fma_f64 v[26:27], v[137:138], s[30:31], -v[141:142]
	v_add_f64 v[80:81], v[80:81], v[100:101]
	v_add_f64 v[14:15], v[14:15], v[18:19]
	;; [unrolled: 1-line block ×4, first 2 shown]
	v_fma_f64 v[90:91], v[147:148], s[8:9], v[219:220]
	v_add_f64 v[92:93], v[94:95], v[189:190]
	v_mul_f64 v[94:95], v[123:124], s[28:29]
	v_fma_f64 v[123:124], v[133:134], s[10:11], v[125:126]
	v_add_f64 v[189:190], v[191:192], v[193:194]
	v_mul_f64 v[143:144], v[155:156], s[16:17]
	v_fma_f64 v[86:87], v[129:130], s[8:9], -v[135:136]
	v_add_f64 v[82:83], v[127:128], v[82:83]
	v_fma_f64 v[100:101], v[151:152], s[8:9], v[96:97]
	v_add_f64 v[16:17], v[131:132], v[24:25]
	v_fma_f64 v[18:19], v[151:152], s[8:9], -v[96:97]
	v_add_f64 v[24:25], v[26:27], v[80:81]
	v_add_f64 v[14:15], v[14:15], v[22:23]
	;; [unrolled: 1-line block ×4, first 2 shown]
	v_mul_f64 v[92:93], v[121:122], s[20:21]
	v_add_f64 v[121:122], v[123:124], v[189:190]
	v_mul_f64 v[123:124], v[157:158], s[28:29]
	v_fma_f64 v[26:27], v[133:134], s[10:11], -v[125:126]
	v_add_f64 v[80:81], v[86:87], v[82:83]
	v_fma_f64 v[82:83], v[149:150], s[10:11], v[143:144]
	v_add_f64 v[16:17], v[100:101], v[16:17]
	v_fma_f64 v[213:214], v[153:154], s[26:27], v[213:214]
	v_add_f64 v[209:210], v[209:210], v[187:188]
	v_fma_f64 v[223:224], v[149:150], s[26:27], -v[211:212]
	v_fma_f64 v[20:21], v[149:150], s[10:11], -v[143:144]
	v_add_f64 v[18:19], v[18:19], v[24:25]
	v_add_f64 v[10:11], v[14:15], v[10:11]
	v_add_f64 v[8:9], v[12:13], v[8:9]
	v_mul_f64 v[102:103], v[159:160], s[20:21]
	v_fma_f64 v[22:23], v[119:120], s[26:27], -v[94:95]
	v_add_f64 v[24:25], v[26:27], v[80:81]
	v_fma_f64 v[26:27], v[147:148], s[26:27], v[123:124]
	v_add_f64 v[12:13], v[82:83], v[16:17]
	v_add_f64 v[187:188], v[197:198], v[185:186]
	v_add_f64 v[185:186], v[213:214], v[209:210]
	v_fma_f64 v[213:214], v[117:118], s[24:25], -v[221:222]
	v_fma_f64 v[230:231], v[147:148], s[8:9], -v[219:220]
	v_add_f64 v[207:208], v[223:224], v[207:208]
	v_fma_f64 v[98:99], v[119:120], s[26:27], v[94:95]
	v_fma_f64 v[14:15], v[147:148], s[26:27], -v[123:124]
	v_add_f64 v[16:17], v[20:21], v[18:19]
	v_add_f64 v[6:7], v[10:11], v[6:7]
	;; [unrolled: 1-line block ×3, first 2 shown]
	v_fma_f64 v[18:19], v[117:118], s[18:19], -v[92:93]
	v_add_f64 v[20:21], v[22:23], v[24:25]
	v_fma_f64 v[22:23], v[153:154], s[18:19], v[102:103]
	v_add_f64 v[12:13], v[26:27], v[12:13]
	v_add_f64 v[84:85], v[213:214], v[88:89]
	v_fma_f64 v[88:89], v[153:154], s[24:25], v[217:218]
	v_fma_f64 v[197:198], v[117:118], s[24:25], v[221:222]
	v_add_f64 v[201:202], v[228:229], v[201:202]
	v_fma_f64 v[209:210], v[153:154], s[24:25], -v[217:218]
	v_add_f64 v[207:208], v[230:231], v[207:208]
	v_fma_f64 v[24:25], v[117:118], s[18:19], v[92:93]
	v_add_f64 v[26:27], v[98:99], v[121:122]
	v_fma_f64 v[80:81], v[153:154], s[18:19], -v[102:103]
	v_add_f64 v[14:15], v[14:15], v[16:17]
	v_add_f64 v[8:9], v[6:7], v[2:3]
	;; [unrolled: 1-line block ×6, first 2 shown]
	v_lshlrev_b32_e32 v0, 4, v227
	v_add_f64 v[12:13], v[197:198], v[201:202]
	v_add_f64 v[10:11], v[209:210], v[207:208]
	;; [unrolled: 1-line block ×4, first 2 shown]
	ds_write_b128 v0, v[6:9]
	ds_write_b128 v0, v[2:5] offset:16
	ds_write_b128 v0, v[82:85] offset:32
	;; [unrolled: 1-line block ×12, first 2 shown]
.LBB0_13:
	s_or_b64 exec, exec, s[2:3]
	s_waitcnt lgkmcnt(0)
	s_barrier
	ds_read_b128 v[0:3], v165 offset:3744
	ds_read_b128 v[4:7], v165 offset:7488
	;; [unrolled: 1-line block ×4, first 2 shown]
	s_mov_b32 s2, 0xe8584caa
	s_waitcnt lgkmcnt(3)
	v_mul_f64 v[16:17], v[34:35], v[2:3]
	s_waitcnt lgkmcnt(2)
	v_mul_f64 v[18:19], v[30:31], v[6:7]
	v_mul_f64 v[24:25], v[34:35], v[0:1]
	;; [unrolled: 1-line block ×3, first 2 shown]
	s_mov_b32 s3, 0xbfebb67a
	s_mov_b32 s9, 0x3febb67a
	s_mov_b32 s8, s2
	v_fma_f64 v[30:31], v[32:33], v[0:1], v[16:17]
	v_fma_f64 v[34:35], v[28:29], v[4:5], v[18:19]
	s_waitcnt lgkmcnt(1)
	v_mul_f64 v[0:1], v[42:43], v[10:11]
	v_mul_f64 v[4:5], v[42:43], v[8:9]
	s_waitcnt lgkmcnt(0)
	v_mul_f64 v[42:43], v[38:39], v[14:15]
	v_fma_f64 v[2:3], v[32:33], v[2:3], -v[24:25]
	v_fma_f64 v[6:7], v[28:29], v[6:7], -v[26:27]
	v_mul_f64 v[26:27], v[38:39], v[12:13]
	ds_read_b128 v[16:19], v165
	ds_read_b128 v[20:23], v165 offset:1872
	v_add_f64 v[24:25], v[30:31], v[34:35]
	v_fma_f64 v[28:29], v[40:41], v[8:9], v[0:1]
	v_fma_f64 v[10:11], v[40:41], v[10:11], -v[4:5]
	v_fma_f64 v[12:13], v[36:37], v[12:13], v[42:43]
	s_waitcnt lgkmcnt(1)
	v_add_f64 v[0:1], v[16:17], v[30:31]
	v_add_f64 v[8:9], v[2:3], -v[6:7]
	v_fma_f64 v[14:15], v[36:37], v[14:15], -v[26:27]
	s_waitcnt lgkmcnt(0)
	v_fma_f64 v[16:17], v[24:25], -0.5, v[16:17]
	v_add_f64 v[24:25], v[2:3], v[6:7]
	v_add_f64 v[2:3], v[18:19], v[2:3]
	;; [unrolled: 1-line block ×5, first 2 shown]
	s_barrier
	v_fma_f64 v[4:5], v[8:9], s[2:3], v[16:17]
	v_fma_f64 v[8:9], v[8:9], s[8:9], v[16:17]
	v_add_f64 v[16:17], v[10:11], v[14:15]
	v_fma_f64 v[18:19], v[24:25], -0.5, v[18:19]
	v_add_f64 v[24:25], v[30:31], -v[34:35]
	v_add_f64 v[30:31], v[20:21], v[28:29]
	v_fma_f64 v[20:21], v[26:27], -0.5, v[20:21]
	v_add_f64 v[26:27], v[10:11], -v[14:15]
	v_add_f64 v[28:29], v[28:29], -v[12:13]
	v_add_f64 v[2:3], v[2:3], v[6:7]
	v_fma_f64 v[22:23], v[16:17], -0.5, v[22:23]
	v_add_f64 v[14:15], v[32:33], v[14:15]
	v_fma_f64 v[6:7], v[24:25], s[8:9], v[18:19]
	v_fma_f64 v[10:11], v[24:25], s[2:3], v[18:19]
	v_add_f64 v[12:13], v[30:31], v[12:13]
	v_fma_f64 v[16:17], v[26:27], s[2:3], v[20:21]
	v_fma_f64 v[20:21], v[26:27], s[8:9], v[20:21]
	;; [unrolled: 1-line block ×4, first 2 shown]
	ds_write_b128 v167, v[0:3]
	ds_write_b128 v167, v[4:7] offset:208
	ds_write_b128 v167, v[8:11] offset:416
	ds_write_b128 v166, v[12:15]
	ds_write_b128 v166, v[16:19] offset:208
	ds_write_b128 v166, v[20:23] offset:416
	s_waitcnt lgkmcnt(0)
	s_barrier
	ds_read_b128 v[0:3], v165 offset:3744
	ds_read_b128 v[4:7], v165 offset:1872
	;; [unrolled: 1-line block ×5, first 2 shown]
	ds_read_b128 v[20:23], v165
	s_waitcnt lgkmcnt(5)
	v_mul_f64 v[24:25], v[54:55], v[2:3]
	s_waitcnt lgkmcnt(3)
	v_mul_f64 v[26:27], v[62:63], v[10:11]
	s_waitcnt lgkmcnt(2)
	v_mul_f64 v[30:31], v[50:51], v[12:13]
	s_waitcnt lgkmcnt(1)
	v_mul_f64 v[32:33], v[58:59], v[16:17]
	v_mul_f64 v[28:29], v[46:47], v[4:5]
	v_mul_f64 v[34:35], v[50:51], v[14:15]
	;; [unrolled: 1-line block ×3, first 2 shown]
	s_waitcnt lgkmcnt(0)
	v_fma_f64 v[24:25], v[52:53], v[0:1], v[24:25]
	v_mul_f64 v[0:1], v[54:55], v[0:1]
	v_fma_f64 v[26:27], v[60:61], v[8:9], v[26:27]
	v_mul_f64 v[8:9], v[62:63], v[8:9]
	v_fma_f64 v[14:15], v[48:49], v[14:15], -v[30:31]
	v_fma_f64 v[18:19], v[56:57], v[18:19], -v[32:33]
	v_mul_f64 v[30:31], v[46:47], v[6:7]
	v_fma_f64 v[6:7], v[44:45], v[6:7], -v[28:29]
	v_add_f64 v[28:29], v[20:21], v[24:25]
	v_fma_f64 v[0:1], v[52:53], v[2:3], -v[0:1]
	v_fma_f64 v[2:3], v[48:49], v[12:13], v[34:35]
	v_add_f64 v[12:13], v[24:25], v[26:27]
	v_fma_f64 v[8:9], v[60:61], v[10:11], -v[8:9]
	v_fma_f64 v[10:11], v[56:57], v[16:17], v[36:37]
	v_add_f64 v[16:17], v[14:15], v[18:19]
	v_fma_f64 v[4:5], v[44:45], v[4:5], v[30:31]
	v_add_f64 v[38:39], v[14:15], -v[18:19]
	v_add_f64 v[34:35], v[22:23], v[0:1]
	v_add_f64 v[28:29], v[28:29], v[26:27]
	v_fma_f64 v[12:13], v[12:13], -0.5, v[20:21]
	v_add_f64 v[20:21], v[0:1], -v[8:9]
	v_add_f64 v[30:31], v[2:3], v[10:11]
	v_fma_f64 v[16:17], v[16:17], -0.5, v[6:7]
	v_add_f64 v[32:33], v[2:3], -v[10:11]
	v_add_f64 v[0:1], v[0:1], v[8:9]
	v_add_f64 v[2:3], v[4:5], v[2:3]
	;; [unrolled: 1-line block ×3, first 2 shown]
	s_barrier
	v_fma_f64 v[36:37], v[20:21], s[2:3], v[12:13]
	v_fma_f64 v[30:31], v[30:31], -0.5, v[4:5]
	v_fma_f64 v[20:21], v[20:21], s[8:9], v[12:13]
	v_fma_f64 v[12:13], v[32:33], s[8:9], v[16:17]
	;; [unrolled: 1-line block ×3, first 2 shown]
	v_add_f64 v[32:33], v[34:35], v[8:9]
	v_fma_f64 v[0:1], v[0:1], -0.5, v[22:23]
	v_add_f64 v[8:9], v[24:25], -v[26:27]
	v_add_f64 v[18:19], v[6:7], v[18:19]
	v_fma_f64 v[4:5], v[38:39], s[2:3], v[30:31]
	v_fma_f64 v[22:23], v[38:39], s[8:9], v[30:31]
	v_mul_f64 v[24:25], v[12:13], s[2:3]
	v_mul_f64 v[12:13], v[12:13], 0.5
	v_mul_f64 v[26:27], v[16:17], s[2:3]
	v_mul_f64 v[14:15], v[16:17], -0.5
	v_add_f64 v[16:17], v[2:3], v[10:11]
	v_fma_f64 v[30:31], v[8:9], s[8:9], v[0:1]
	v_fma_f64 v[34:35], v[8:9], s[2:3], v[0:1]
	v_add_f64 v[2:3], v[32:33], v[18:19]
	v_fma_f64 v[24:25], v[4:5], 0.5, v[24:25]
	v_fma_f64 v[38:39], v[4:5], s[8:9], v[12:13]
	v_fma_f64 v[26:27], v[22:23], -0.5, v[26:27]
	v_fma_f64 v[22:23], v[22:23], s[8:9], v[14:15]
	v_add_f64 v[0:1], v[28:29], v[16:17]
	v_add_f64 v[12:13], v[28:29], -v[16:17]
	v_add_f64 v[14:15], v[32:33], -v[18:19]
	v_add_f64 v[4:5], v[36:37], v[24:25]
	v_add_f64 v[6:7], v[30:31], v[38:39]
	;; [unrolled: 1-line block ×4, first 2 shown]
	v_add_f64 v[16:17], v[36:37], -v[24:25]
	v_add_f64 v[18:19], v[30:31], -v[38:39]
	;; [unrolled: 1-line block ×4, first 2 shown]
	ds_write_b128 v168, v[0:3]
	ds_write_b128 v168, v[4:7] offset:624
	ds_write_b128 v168, v[8:11] offset:1248
	ds_write_b128 v168, v[12:15] offset:1872
	ds_write_b128 v168, v[16:19] offset:2496
	ds_write_b128 v168, v[20:23] offset:3120
	s_waitcnt lgkmcnt(0)
	s_barrier
	ds_read_b128 v[0:3], v165 offset:3744
	ds_read_b128 v[4:7], v165 offset:7488
	;; [unrolled: 1-line block ×4, first 2 shown]
	s_waitcnt lgkmcnt(3)
	v_mul_f64 v[16:17], v[70:71], v[2:3]
	s_waitcnt lgkmcnt(2)
	v_mul_f64 v[18:19], v[66:67], v[6:7]
	v_mul_f64 v[20:21], v[70:71], v[0:1]
	s_waitcnt lgkmcnt(1)
	v_mul_f64 v[22:23], v[78:79], v[10:11]
	s_waitcnt lgkmcnt(0)
	v_mul_f64 v[24:25], v[74:75], v[14:15]
	v_mul_f64 v[30:31], v[78:79], v[8:9]
	;; [unrolled: 1-line block ×3, first 2 shown]
	v_fma_f64 v[16:17], v[68:69], v[0:1], v[16:17]
	v_mul_f64 v[0:1], v[66:67], v[4:5]
	v_fma_f64 v[18:19], v[64:65], v[4:5], v[18:19]
	v_fma_f64 v[20:21], v[68:69], v[2:3], -v[20:21]
	v_fma_f64 v[22:23], v[76:77], v[8:9], v[22:23]
	v_fma_f64 v[24:25], v[72:73], v[12:13], v[24:25]
	v_fma_f64 v[10:11], v[76:77], v[10:11], -v[30:31]
	v_fma_f64 v[30:31], v[72:73], v[14:15], -v[32:33]
	;; [unrolled: 1-line block ×3, first 2 shown]
	v_add_f64 v[28:29], v[16:17], v[18:19]
	ds_read_b128 v[0:3], v165
	ds_read_b128 v[4:7], v165 offset:1872
	v_add_f64 v[32:33], v[22:23], v[24:25]
	v_add_f64 v[34:35], v[10:11], -v[30:31]
	s_waitcnt lgkmcnt(1)
	v_add_f64 v[8:9], v[0:1], v[16:17]
	v_add_f64 v[14:15], v[20:21], v[26:27]
	v_fma_f64 v[12:13], v[28:29], -0.5, v[0:1]
	v_add_f64 v[28:29], v[20:21], -v[26:27]
	v_add_f64 v[20:21], v[2:3], v[20:21]
	v_add_f64 v[16:17], v[16:17], -v[18:19]
	s_waitcnt lgkmcnt(0)
	v_add_f64 v[36:37], v[6:7], v[10:11]
	v_fma_f64 v[32:33], v[32:33], -0.5, v[4:5]
	v_add_f64 v[0:1], v[8:9], v[18:19]
	v_fma_f64 v[14:15], v[14:15], -0.5, v[2:3]
	v_add_f64 v[18:19], v[4:5], v[22:23]
	v_fma_f64 v[8:9], v[28:29], s[2:3], v[12:13]
	v_fma_f64 v[12:13], v[28:29], s[8:9], v[12:13]
	v_add_f64 v[28:29], v[10:11], v[30:31]
	v_add_f64 v[22:23], v[22:23], -v[24:25]
	v_add_f64 v[2:3], v[20:21], v[26:27]
	v_fma_f64 v[20:21], v[34:35], s[8:9], v[32:33]
	v_fma_f64 v[10:11], v[16:17], s[8:9], v[14:15]
	;; [unrolled: 1-line block ×3, first 2 shown]
	v_add_f64 v[4:5], v[18:19], v[24:25]
	v_fma_f64 v[16:17], v[34:35], s[2:3], v[32:33]
	v_fma_f64 v[28:29], v[28:29], -0.5, v[6:7]
	v_add_f64 v[6:7], v[36:37], v[30:31]
	v_fma_f64 v[18:19], v[22:23], s[8:9], v[28:29]
	v_fma_f64 v[22:23], v[22:23], s[2:3], v[28:29]
	ds_write_b128 v165, v[0:3]
	ds_write_b128 v165, v[8:11] offset:3744
	ds_write_b128 v165, v[12:15] offset:7488
	;; [unrolled: 1-line block ×5, first 2 shown]
	s_waitcnt lgkmcnt(0)
	s_barrier
	s_and_b64 exec, exec, s[0:1]
	s_cbranch_execz .LBB0_15
; %bb.14:
	global_load_dwordx4 v[0:3], v225, s[14:15]
	global_load_dwordx4 v[4:7], v225, s[14:15] offset:864
	global_load_dwordx4 v[8:11], v225, s[14:15] offset:1728
	;; [unrolled: 1-line block ×4, first 2 shown]
	v_mov_b32_e32 v24, s15
	v_mad_u64_u32 v[78:79], s[2:3], s4, v226, 0
	v_add_co_u32_e32 v56, vcc, s14, v225
	s_movk_i32 s2, 0x1000
	v_addc_co_u32_e32 v57, vcc, 0, v24, vcc
	v_add_co_u32_e32 v80, vcc, s2, v56
	v_addc_co_u32_e32 v81, vcc, 0, v57, vcc
	global_load_dwordx4 v[24:27], v[80:81], off offset:224
	ds_read_b128 v[20:23], v165
	ds_read_b128 v[28:31], v225 offset:864
	ds_read_b128 v[32:35], v225 offset:1728
	;; [unrolled: 1-line block ×6, first 2 shown]
	global_load_dwordx4 v[52:55], v[80:81], off offset:1088
	v_mad_u64_u32 v[76:77], s[0:1], s6, v116, 0
	s_mul_hi_u32 s6, s4, 0x360
	s_mul_i32 s2, s4, 0x360
	s_movk_i32 s4, 0x2000
	v_add_co_u32_e32 v82, vcc, s4, v56
	v_addc_co_u32_e32 v83, vcc, 0, v57, vcc
	global_load_dwordx4 v[56:59], v[80:81], off offset:1952
	global_load_dwordx4 v[60:63], v[80:81], off offset:2816
	s_mul_i32 s3, s5, 0x360
	v_mov_b32_e32 v64, v77
	v_mov_b32_e32 v65, v79
	s_add_i32 s3, s6, s3
	v_mad_u64_u32 v[84:85], s[6:7], s7, v116, v[64:65]
	v_mad_u64_u32 v[85:86], s[4:5], s5, v226, v[65:66]
	global_load_dwordx4 v[64:67], v[80:81], off offset:3680
	global_load_dwordx4 v[68:71], v[82:83], off offset:448
	;; [unrolled: 1-line block ×3, first 2 shown]
	v_mov_b32_e32 v77, v84
	v_lshlrev_b64 v[76:77], 4, v[76:77]
	v_mov_b32_e32 v87, s13
	v_mov_b32_e32 v79, v85
	v_add_co_u32_e32 v76, vcc, s12, v76
	v_addc_co_u32_e32 v77, vcc, v87, v77, vcc
	v_lshlrev_b64 v[78:79], 4, v[78:79]
	v_mov_b32_e32 v88, s3
	v_add_co_u32_e32 v76, vcc, v76, v78
	v_addc_co_u32_e32 v77, vcc, v77, v79, vcc
	v_add_co_u32_e32 v78, vcc, s2, v76
	v_addc_co_u32_e32 v79, vcc, v77, v88, vcc
	s_mov_b32 s0, 0xc201756d
	s_mov_b32 s1, 0x3f5756ca
	v_mov_b32_e32 v92, s3
	v_mov_b32_e32 v93, s3
	s_waitcnt vmcnt(11) lgkmcnt(6)
	v_mul_f64 v[80:81], v[22:23], v[2:3]
	v_mul_f64 v[2:3], v[20:21], v[2:3]
	s_waitcnt vmcnt(10) lgkmcnt(5)
	v_mul_f64 v[84:85], v[30:31], v[6:7]
	v_mul_f64 v[6:7], v[28:29], v[6:7]
	;; [unrolled: 3-line block ×4, first 2 shown]
	v_fma_f64 v[20:21], v[20:21], v[0:1], v[80:81]
	v_fma_f64 v[2:3], v[0:1], v[22:23], -v[2:3]
	v_fma_f64 v[22:23], v[28:29], v[4:5], v[84:85]
	v_fma_f64 v[6:7], v[4:5], v[30:31], -v[6:7]
	;; [unrolled: 2-line block ×3, first 2 shown]
	s_waitcnt vmcnt(7) lgkmcnt(2)
	v_mul_f64 v[90:91], v[42:43], v[18:19]
	v_mul_f64 v[18:19], v[40:41], v[18:19]
	;; [unrolled: 1-line block ×8, first 2 shown]
	v_fma_f64 v[30:31], v[36:37], v[12:13], v[88:89]
	v_fma_f64 v[14:15], v[12:13], v[38:39], -v[14:15]
	v_add_co_u32_e32 v20, vcc, s2, v78
	v_addc_co_u32_e32 v21, vcc, v79, v92, vcc
	v_fma_f64 v[22:23], v[40:41], v[16:17], v[90:91]
	v_fma_f64 v[16:17], v[16:17], v[42:43], -v[18:19]
	global_store_dwordx4 v[76:77], v[0:3], off
	global_store_dwordx4 v[78:79], v[4:7], off
	;; [unrolled: 1-line block ×3, first 2 shown]
	s_waitcnt vmcnt(9) lgkmcnt(1)
	v_mul_f64 v[4:5], v[46:47], v[26:27]
	v_mul_f64 v[6:7], v[44:45], v[26:27]
	;; [unrolled: 1-line block ×4, first 2 shown]
	v_add_co_u32_e32 v8, vcc, s2, v20
	v_mul_f64 v[0:1], v[22:23], s[0:1]
	v_mul_f64 v[2:3], v[16:17], s[0:1]
	v_fma_f64 v[4:5], v[44:45], v[24:25], v[4:5]
	v_fma_f64 v[6:7], v[24:25], v[46:47], -v[6:7]
	v_addc_co_u32_e32 v9, vcc, v21, v93, vcc
	global_store_dwordx4 v[8:9], v[12:15], off
	s_waitcnt vmcnt(9) lgkmcnt(0)
	v_mul_f64 v[10:11], v[50:51], v[54:55]
	v_mul_f64 v[12:13], v[48:49], v[54:55]
	v_mov_b32_e32 v15, s3
	v_add_co_u32_e32 v14, vcc, s2, v8
	v_addc_co_u32_e32 v15, vcc, v9, v15, vcc
	global_store_dwordx4 v[14:15], v[0:3], off
	v_fma_f64 v[16:17], v[48:49], v[52:53], v[10:11]
	v_mul_f64 v[0:1], v[4:5], s[0:1]
	v_mul_f64 v[2:3], v[6:7], s[0:1]
	ds_read_b128 v[4:7], v225 offset:6048
	ds_read_b128 v[8:11], v225 offset:6912
	v_fma_f64 v[12:13], v[52:53], v[50:51], -v[12:13]
	v_mov_b32_e32 v22, s3
	v_add_co_u32_e32 v14, vcc, s2, v14
	s_waitcnt vmcnt(9) lgkmcnt(1)
	v_mul_f64 v[18:19], v[6:7], v[58:59]
	v_mul_f64 v[20:21], v[4:5], v[58:59]
	v_addc_co_u32_e32 v15, vcc, v15, v22, vcc
	global_store_dwordx4 v[14:15], v[0:3], off
	v_add_co_u32_e32 v14, vcc, s2, v14
	v_mul_f64 v[0:1], v[16:17], s[0:1]
	v_mul_f64 v[2:3], v[12:13], s[0:1]
	v_fma_f64 v[4:5], v[4:5], v[56:57], v[18:19]
	v_fma_f64 v[6:7], v[56:57], v[6:7], -v[20:21]
	s_waitcnt vmcnt(9) lgkmcnt(0)
	v_mul_f64 v[12:13], v[10:11], v[62:63]
	v_mul_f64 v[16:17], v[8:9], v[62:63]
	v_addc_co_u32_e32 v15, vcc, v15, v22, vcc
	v_mov_b32_e32 v18, s3
	global_store_dwordx4 v[14:15], v[0:3], off
	v_add_co_u32_e32 v14, vcc, s2, v14
	v_mul_f64 v[0:1], v[4:5], s[0:1]
	v_mul_f64 v[2:3], v[6:7], s[0:1]
	v_fma_f64 v[8:9], v[8:9], v[60:61], v[12:13]
	ds_read_b128 v[4:7], v225 offset:7776
	v_fma_f64 v[12:13], v[60:61], v[10:11], -v[16:17]
	v_addc_co_u32_e32 v15, vcc, v15, v18, vcc
	v_add_co_u32_e32 v20, vcc, s2, v14
	global_store_dwordx4 v[14:15], v[0:3], off
	s_nop 0
	v_mul_f64 v[0:1], v[8:9], s[0:1]
	ds_read_b128 v[8:11], v225 offset:8640
	s_waitcnt vmcnt(10) lgkmcnt(1)
	v_mul_f64 v[16:17], v[6:7], v[66:67]
	v_mul_f64 v[18:19], v[4:5], v[66:67]
	;; [unrolled: 1-line block ×3, first 2 shown]
	v_mov_b32_e32 v12, s3
	v_addc_co_u32_e32 v21, vcc, v15, v12, vcc
	ds_read_b128 v[12:15], v225 offset:9504
	s_waitcnt vmcnt(9) lgkmcnt(1)
	v_mul_f64 v[22:23], v[10:11], v[70:71]
	v_fma_f64 v[16:17], v[4:5], v[64:65], v[16:17]
	v_fma_f64 v[18:19], v[64:65], v[6:7], -v[18:19]
	ds_read_b128 v[4:7], v225 offset:10368
	v_mul_f64 v[24:25], v[8:9], v[70:71]
	s_waitcnt vmcnt(8) lgkmcnt(1)
	v_mul_f64 v[26:27], v[14:15], v[74:75]
	v_mul_f64 v[28:29], v[12:13], v[74:75]
	global_store_dwordx4 v[20:21], v[0:3], off
	v_fma_f64 v[8:9], v[8:9], v[68:69], v[22:23]
	v_mul_f64 v[0:1], v[16:17], s[0:1]
	v_mul_f64 v[2:3], v[18:19], s[0:1]
	v_mov_b32_e32 v17, s3
	v_fma_f64 v[10:11], v[68:69], v[10:11], -v[24:25]
	v_fma_f64 v[12:13], v[12:13], v[72:73], v[26:27]
	v_fma_f64 v[14:15], v[72:73], v[14:15], -v[28:29]
	v_add_co_u32_e32 v16, vcc, s2, v20
	v_addc_co_u32_e32 v17, vcc, v21, v17, vcc
	global_store_dwordx4 v[16:17], v[0:3], off
	v_mov_b32_e32 v18, s3
	v_mul_f64 v[0:1], v[8:9], s[0:1]
	v_mul_f64 v[2:3], v[10:11], s[0:1]
	;; [unrolled: 1-line block ×4, first 2 shown]
	v_add_co_u32_e32 v12, vcc, s2, v16
	v_addc_co_u32_e32 v13, vcc, v17, v18, vcc
	global_store_dwordx4 v[12:13], v[0:3], off
	s_nop 0
	v_mov_b32_e32 v0, s3
	v_add_co_u32_e32 v12, vcc, s2, v12
	v_addc_co_u32_e32 v13, vcc, v13, v0, vcc
	global_store_dwordx4 v[12:13], v[8:11], off
	global_load_dwordx4 v[0:3], v[82:83], off offset:2176
	s_waitcnt vmcnt(0) lgkmcnt(0)
	v_mul_f64 v[8:9], v[6:7], v[2:3]
	v_mul_f64 v[2:3], v[4:5], v[2:3]
	v_fma_f64 v[4:5], v[4:5], v[0:1], v[8:9]
	v_fma_f64 v[2:3], v[0:1], v[6:7], -v[2:3]
	v_mul_f64 v[0:1], v[4:5], s[0:1]
	v_mul_f64 v[2:3], v[2:3], s[0:1]
	v_mov_b32_e32 v5, s3
	v_add_co_u32_e32 v4, vcc, s2, v12
	v_addc_co_u32_e32 v5, vcc, v13, v5, vcc
	global_store_dwordx4 v[4:5], v[0:3], off
.LBB0_15:
	s_endpgm
	.section	.rodata,"a",@progbits
	.p2align	6, 0x0
	.amdhsa_kernel bluestein_single_fwd_len702_dim1_dp_op_CI_CI
		.amdhsa_group_segment_fixed_size 11232
		.amdhsa_private_segment_fixed_size 0
		.amdhsa_kernarg_size 104
		.amdhsa_user_sgpr_count 6
		.amdhsa_user_sgpr_private_segment_buffer 1
		.amdhsa_user_sgpr_dispatch_ptr 0
		.amdhsa_user_sgpr_queue_ptr 0
		.amdhsa_user_sgpr_kernarg_segment_ptr 1
		.amdhsa_user_sgpr_dispatch_id 0
		.amdhsa_user_sgpr_flat_scratch_init 0
		.amdhsa_user_sgpr_private_segment_size 0
		.amdhsa_uses_dynamic_stack 0
		.amdhsa_system_sgpr_private_segment_wavefront_offset 0
		.amdhsa_system_sgpr_workgroup_id_x 1
		.amdhsa_system_sgpr_workgroup_id_y 0
		.amdhsa_system_sgpr_workgroup_id_z 0
		.amdhsa_system_sgpr_workgroup_info 0
		.amdhsa_system_vgpr_workitem_id 0
		.amdhsa_next_free_vgpr 256
		.amdhsa_next_free_sgpr 46
		.amdhsa_reserve_vcc 1
		.amdhsa_reserve_flat_scratch 0
		.amdhsa_float_round_mode_32 0
		.amdhsa_float_round_mode_16_64 0
		.amdhsa_float_denorm_mode_32 3
		.amdhsa_float_denorm_mode_16_64 3
		.amdhsa_dx10_clamp 1
		.amdhsa_ieee_mode 1
		.amdhsa_fp16_overflow 0
		.amdhsa_exception_fp_ieee_invalid_op 0
		.amdhsa_exception_fp_denorm_src 0
		.amdhsa_exception_fp_ieee_div_zero 0
		.amdhsa_exception_fp_ieee_overflow 0
		.amdhsa_exception_fp_ieee_underflow 0
		.amdhsa_exception_fp_ieee_inexact 0
		.amdhsa_exception_int_div_zero 0
	.end_amdhsa_kernel
	.text
.Lfunc_end0:
	.size	bluestein_single_fwd_len702_dim1_dp_op_CI_CI, .Lfunc_end0-bluestein_single_fwd_len702_dim1_dp_op_CI_CI
                                        ; -- End function
	.section	.AMDGPU.csdata,"",@progbits
; Kernel info:
; codeLenInByte = 15088
; NumSgprs: 50
; NumVgprs: 256
; ScratchSize: 0
; MemoryBound: 0
; FloatMode: 240
; IeeeMode: 1
; LDSByteSize: 11232 bytes/workgroup (compile time only)
; SGPRBlocks: 6
; VGPRBlocks: 63
; NumSGPRsForWavesPerEU: 50
; NumVGPRsForWavesPerEU: 256
; Occupancy: 1
; WaveLimiterHint : 1
; COMPUTE_PGM_RSRC2:SCRATCH_EN: 0
; COMPUTE_PGM_RSRC2:USER_SGPR: 6
; COMPUTE_PGM_RSRC2:TRAP_HANDLER: 0
; COMPUTE_PGM_RSRC2:TGID_X_EN: 1
; COMPUTE_PGM_RSRC2:TGID_Y_EN: 0
; COMPUTE_PGM_RSRC2:TGID_Z_EN: 0
; COMPUTE_PGM_RSRC2:TIDIG_COMP_CNT: 0
	.type	__hip_cuid_f1c0eb046709a2bf,@object ; @__hip_cuid_f1c0eb046709a2bf
	.section	.bss,"aw",@nobits
	.globl	__hip_cuid_f1c0eb046709a2bf
__hip_cuid_f1c0eb046709a2bf:
	.byte	0                               ; 0x0
	.size	__hip_cuid_f1c0eb046709a2bf, 1

	.ident	"AMD clang version 19.0.0git (https://github.com/RadeonOpenCompute/llvm-project roc-6.4.0 25133 c7fe45cf4b819c5991fe208aaa96edf142730f1d)"
	.section	".note.GNU-stack","",@progbits
	.addrsig
	.addrsig_sym __hip_cuid_f1c0eb046709a2bf
	.amdgpu_metadata
---
amdhsa.kernels:
  - .args:
      - .actual_access:  read_only
        .address_space:  global
        .offset:         0
        .size:           8
        .value_kind:     global_buffer
      - .actual_access:  read_only
        .address_space:  global
        .offset:         8
        .size:           8
        .value_kind:     global_buffer
      - .actual_access:  read_only
        .address_space:  global
        .offset:         16
        .size:           8
        .value_kind:     global_buffer
      - .actual_access:  read_only
        .address_space:  global
        .offset:         24
        .size:           8
        .value_kind:     global_buffer
      - .actual_access:  read_only
        .address_space:  global
        .offset:         32
        .size:           8
        .value_kind:     global_buffer
      - .offset:         40
        .size:           8
        .value_kind:     by_value
      - .address_space:  global
        .offset:         48
        .size:           8
        .value_kind:     global_buffer
      - .address_space:  global
        .offset:         56
        .size:           8
        .value_kind:     global_buffer
      - .address_space:  global
        .offset:         64
        .size:           8
        .value_kind:     global_buffer
      - .address_space:  global
        .offset:         72
        .size:           8
        .value_kind:     global_buffer
      - .offset:         80
        .size:           4
        .value_kind:     by_value
      - .address_space:  global
        .offset:         88
        .size:           8
        .value_kind:     global_buffer
      - .address_space:  global
        .offset:         96
        .size:           8
        .value_kind:     global_buffer
    .group_segment_fixed_size: 11232
    .kernarg_segment_align: 8
    .kernarg_segment_size: 104
    .language:       OpenCL C
    .language_version:
      - 2
      - 0
    .max_flat_workgroup_size: 117
    .name:           bluestein_single_fwd_len702_dim1_dp_op_CI_CI
    .private_segment_fixed_size: 0
    .sgpr_count:     50
    .sgpr_spill_count: 0
    .symbol:         bluestein_single_fwd_len702_dim1_dp_op_CI_CI.kd
    .uniform_work_group_size: 1
    .uses_dynamic_stack: false
    .vgpr_count:     256
    .vgpr_spill_count: 0
    .wavefront_size: 64
amdhsa.target:   amdgcn-amd-amdhsa--gfx906
amdhsa.version:
  - 1
  - 2
...

	.end_amdgpu_metadata
